;; amdgpu-corpus repo=ROCm/rocFFT kind=compiled arch=gfx950 opt=O3
	.text
	.amdgcn_target "amdgcn-amd-amdhsa--gfx950"
	.amdhsa_code_object_version 6
	.protected	fft_rtc_back_len1925_factors_7_11_5_5_wgs_55_tpt_55_halfLds_half_op_CI_CI_sbrr_dirReg ; -- Begin function fft_rtc_back_len1925_factors_7_11_5_5_wgs_55_tpt_55_halfLds_half_op_CI_CI_sbrr_dirReg
	.globl	fft_rtc_back_len1925_factors_7_11_5_5_wgs_55_tpt_55_halfLds_half_op_CI_CI_sbrr_dirReg
	.p2align	8
	.type	fft_rtc_back_len1925_factors_7_11_5_5_wgs_55_tpt_55_halfLds_half_op_CI_CI_sbrr_dirReg,@function
fft_rtc_back_len1925_factors_7_11_5_5_wgs_55_tpt_55_halfLds_half_op_CI_CI_sbrr_dirReg: ; @fft_rtc_back_len1925_factors_7_11_5_5_wgs_55_tpt_55_halfLds_half_op_CI_CI_sbrr_dirReg
; %bb.0:
	s_load_dwordx4 s[12:15], s[0:1], 0x18
	s_load_dwordx4 s[8:11], s[0:1], 0x0
	;; [unrolled: 1-line block ×3, first 2 shown]
	v_mul_u32_u24_e32 v1, 0x4a8, v0
	v_add_u32_sdwa v6, s2, v1 dst_sel:DWORD dst_unused:UNUSED_PAD src0_sel:DWORD src1_sel:WORD_1
	s_waitcnt lgkmcnt(0)
	s_load_dwordx2 s[18:19], s[12:13], 0x0
	s_load_dwordx2 s[16:17], s[14:15], 0x0
	v_mov_b32_e32 v4, 0
	v_cmp_lt_u64_e64 s[2:3], s[10:11], 2
	v_mov_b32_e32 v7, v4
	s_and_b64 vcc, exec, s[2:3]
	v_mov_b64_e32 v[2:3], 0
	s_cbranch_vccnz .LBB0_8
; %bb.1:
	s_load_dwordx2 s[2:3], s[0:1], 0x10
	s_add_u32 s20, s14, 8
	s_addc_u32 s21, s15, 0
	s_add_u32 s22, s12, 8
	s_addc_u32 s23, s13, 0
	s_waitcnt lgkmcnt(0)
	s_add_u32 s24, s2, 8
	v_mov_b64_e32 v[2:3], 0
	s_addc_u32 s25, s3, 0
	s_mov_b64 s[26:27], 1
	v_mov_b64_e32 v[12:13], v[2:3]
.LBB0_2:                                ; =>This Inner Loop Header: Depth=1
	s_load_dwordx2 s[28:29], s[24:25], 0x0
                                        ; implicit-def: $vgpr14_vgpr15
	s_waitcnt lgkmcnt(0)
	v_or_b32_e32 v5, s29, v7
	v_cmp_ne_u64_e32 vcc, 0, v[4:5]
	s_and_saveexec_b64 s[2:3], vcc
	s_xor_b64 s[30:31], exec, s[2:3]
	s_cbranch_execz .LBB0_4
; %bb.3:                                ;   in Loop: Header=BB0_2 Depth=1
	v_cvt_f32_u32_e32 v1, s28
	v_cvt_f32_u32_e32 v5, s29
	s_sub_u32 s2, 0, s28
	s_subb_u32 s3, 0, s29
	v_fmac_f32_e32 v1, 0x4f800000, v5
	v_rcp_f32_e32 v1, v1
	s_nop 0
	v_mul_f32_e32 v1, 0x5f7ffffc, v1
	v_mul_f32_e32 v5, 0x2f800000, v1
	v_trunc_f32_e32 v5, v5
	v_fmac_f32_e32 v1, 0xcf800000, v5
	v_cvt_u32_f32_e32 v5, v5
	v_cvt_u32_f32_e32 v1, v1
	v_mul_lo_u32 v8, s2, v5
	v_mul_hi_u32 v10, s2, v1
	v_mul_lo_u32 v9, s3, v1
	v_add_u32_e32 v10, v10, v8
	v_mul_lo_u32 v14, s2, v1
	v_add_u32_e32 v15, v10, v9
	v_mul_hi_u32 v8, v1, v14
	v_mul_hi_u32 v11, v1, v15
	v_mul_lo_u32 v10, v1, v15
	v_mov_b32_e32 v9, v4
	v_lshl_add_u64 v[8:9], v[8:9], 0, v[10:11]
	v_mul_hi_u32 v11, v5, v14
	v_mul_lo_u32 v14, v5, v14
	v_add_co_u32_e32 v8, vcc, v8, v14
	v_mul_hi_u32 v10, v5, v15
	s_nop 0
	v_addc_co_u32_e32 v8, vcc, v9, v11, vcc
	v_mov_b32_e32 v9, v4
	s_nop 0
	v_addc_co_u32_e32 v11, vcc, 0, v10, vcc
	v_mul_lo_u32 v10, v5, v15
	v_lshl_add_u64 v[8:9], v[8:9], 0, v[10:11]
	v_add_co_u32_e32 v1, vcc, v1, v8
	v_mul_lo_u32 v10, s2, v1
	s_nop 0
	v_addc_co_u32_e32 v5, vcc, v5, v9, vcc
	v_mul_lo_u32 v8, s2, v5
	v_mul_hi_u32 v9, s2, v1
	v_add_u32_e32 v8, v9, v8
	v_mul_lo_u32 v9, s3, v1
	v_add_u32_e32 v14, v8, v9
	v_mul_hi_u32 v16, v5, v10
	v_mul_lo_u32 v17, v5, v10
	v_mul_hi_u32 v9, v1, v14
	v_mul_lo_u32 v8, v1, v14
	v_mul_hi_u32 v10, v1, v10
	v_mov_b32_e32 v11, v4
	v_lshl_add_u64 v[8:9], v[10:11], 0, v[8:9]
	v_add_co_u32_e32 v8, vcc, v8, v17
	v_mul_hi_u32 v15, v5, v14
	s_nop 0
	v_addc_co_u32_e32 v8, vcc, v9, v16, vcc
	v_mul_lo_u32 v10, v5, v14
	s_nop 0
	v_addc_co_u32_e32 v11, vcc, 0, v15, vcc
	v_mov_b32_e32 v9, v4
	v_lshl_add_u64 v[8:9], v[8:9], 0, v[10:11]
	v_add_co_u32_e32 v1, vcc, v1, v8
	v_mul_hi_u32 v10, v6, v1
	s_nop 0
	v_addc_co_u32_e32 v5, vcc, v5, v9, vcc
	v_mad_u64_u32 v[8:9], s[2:3], v6, v5, 0
	v_mov_b32_e32 v11, v4
	v_lshl_add_u64 v[8:9], v[10:11], 0, v[8:9]
	v_mad_u64_u32 v[14:15], s[2:3], v7, v1, 0
	v_add_co_u32_e32 v1, vcc, v8, v14
	v_mad_u64_u32 v[10:11], s[2:3], v7, v5, 0
	s_nop 0
	v_addc_co_u32_e32 v8, vcc, v9, v15, vcc
	v_mov_b32_e32 v9, v4
	s_nop 0
	v_addc_co_u32_e32 v11, vcc, 0, v11, vcc
	v_lshl_add_u64 v[8:9], v[8:9], 0, v[10:11]
	v_mul_lo_u32 v1, s29, v8
	v_mul_lo_u32 v5, s28, v9
	v_mad_u64_u32 v[10:11], s[2:3], s28, v8, 0
	v_add3_u32 v1, v11, v5, v1
	v_sub_u32_e32 v5, v7, v1
	v_mov_b32_e32 v11, s29
	v_sub_co_u32_e32 v16, vcc, v6, v10
	v_lshl_add_u64 v[14:15], v[8:9], 0, 1
	s_nop 0
	v_subb_co_u32_e64 v5, s[2:3], v5, v11, vcc
	v_subrev_co_u32_e64 v10, s[2:3], s28, v16
	v_subb_co_u32_e32 v1, vcc, v7, v1, vcc
	s_nop 0
	v_subbrev_co_u32_e64 v5, s[2:3], 0, v5, s[2:3]
	v_cmp_le_u32_e64 s[2:3], s29, v5
	v_cmp_le_u32_e32 vcc, s29, v1
	s_nop 0
	v_cndmask_b32_e64 v11, 0, -1, s[2:3]
	v_cmp_le_u32_e64 s[2:3], s28, v10
	s_nop 1
	v_cndmask_b32_e64 v10, 0, -1, s[2:3]
	v_cmp_eq_u32_e64 s[2:3], s29, v5
	s_nop 1
	v_cndmask_b32_e64 v5, v11, v10, s[2:3]
	v_lshl_add_u64 v[10:11], v[8:9], 0, 2
	v_cmp_ne_u32_e64 s[2:3], 0, v5
	s_nop 1
	v_cndmask_b32_e64 v5, v15, v11, s[2:3]
	v_cndmask_b32_e64 v11, 0, -1, vcc
	v_cmp_le_u32_e32 vcc, s28, v16
	s_nop 1
	v_cndmask_b32_e64 v15, 0, -1, vcc
	v_cmp_eq_u32_e32 vcc, s29, v1
	s_nop 1
	v_cndmask_b32_e32 v1, v11, v15, vcc
	v_cmp_ne_u32_e32 vcc, 0, v1
	v_cndmask_b32_e64 v1, v14, v10, s[2:3]
	s_nop 0
	v_cndmask_b32_e32 v15, v9, v5, vcc
	v_cndmask_b32_e32 v14, v8, v1, vcc
.LBB0_4:                                ;   in Loop: Header=BB0_2 Depth=1
	s_andn2_saveexec_b64 s[2:3], s[30:31]
	s_cbranch_execz .LBB0_6
; %bb.5:                                ;   in Loop: Header=BB0_2 Depth=1
	v_cvt_f32_u32_e32 v1, s28
	s_sub_i32 s30, 0, s28
	v_mov_b32_e32 v15, v4
	v_rcp_iflag_f32_e32 v1, v1
	s_nop 0
	v_mul_f32_e32 v1, 0x4f7ffffe, v1
	v_cvt_u32_f32_e32 v1, v1
	v_mul_lo_u32 v5, s30, v1
	v_mul_hi_u32 v5, v1, v5
	v_add_u32_e32 v1, v1, v5
	v_mul_hi_u32 v1, v6, v1
	v_mul_lo_u32 v5, v1, s28
	v_sub_u32_e32 v5, v6, v5
	v_add_u32_e32 v8, 1, v1
	v_subrev_u32_e32 v9, s28, v5
	v_cmp_le_u32_e32 vcc, s28, v5
	s_nop 1
	v_cndmask_b32_e32 v5, v5, v9, vcc
	v_cndmask_b32_e32 v1, v1, v8, vcc
	v_add_u32_e32 v8, 1, v1
	v_cmp_le_u32_e32 vcc, s28, v5
	s_nop 1
	v_cndmask_b32_e32 v14, v1, v8, vcc
.LBB0_6:                                ;   in Loop: Header=BB0_2 Depth=1
	s_or_b64 exec, exec, s[2:3]
	v_mad_u64_u32 v[8:9], s[2:3], v14, s28, 0
	s_load_dwordx2 s[2:3], s[22:23], 0x0
	v_mul_lo_u32 v1, v15, s28
	v_mul_lo_u32 v5, v14, s29
	s_load_dwordx2 s[28:29], s[20:21], 0x0
	s_add_u32 s26, s26, 1
	v_add3_u32 v1, v9, v5, v1
	v_sub_co_u32_e32 v5, vcc, v6, v8
	s_addc_u32 s27, s27, 0
	s_nop 0
	v_subb_co_u32_e32 v1, vcc, v7, v1, vcc
	s_add_u32 s20, s20, 8
	s_waitcnt lgkmcnt(0)
	v_mul_lo_u32 v6, s2, v1
	v_mul_lo_u32 v7, s3, v5
	v_mad_u64_u32 v[2:3], s[2:3], s2, v5, v[2:3]
	s_addc_u32 s21, s21, 0
	v_add3_u32 v3, v7, v3, v6
	v_mul_lo_u32 v1, s28, v1
	v_mul_lo_u32 v6, s29, v5
	v_mad_u64_u32 v[12:13], s[2:3], s28, v5, v[12:13]
	s_add_u32 s22, s22, 8
	v_add3_u32 v13, v6, v13, v1
	s_addc_u32 s23, s23, 0
	v_mov_b64_e32 v[6:7], s[10:11]
	s_add_u32 s24, s24, 8
	v_cmp_ge_u64_e32 vcc, s[26:27], v[6:7]
	s_addc_u32 s25, s25, 0
	s_cbranch_vccnz .LBB0_9
; %bb.7:                                ;   in Loop: Header=BB0_2 Depth=1
	v_mov_b64_e32 v[6:7], v[14:15]
	s_branch .LBB0_2
.LBB0_8:
	v_mov_b64_e32 v[12:13], v[2:3]
	v_mov_b64_e32 v[14:15], v[6:7]
.LBB0_9:
	s_load_dwordx2 s[0:1], s[0:1], 0x28
	s_lshl_b64 s[10:11], s[10:11], 3
	s_add_u32 s2, s14, s10
	s_addc_u32 s3, s15, s11
                                        ; implicit-def: $sgpr14
                                        ; implicit-def: $vgpr16
                                        ; implicit-def: $vgpr17
                                        ; implicit-def: $vgpr18
                                        ; implicit-def: $vgpr19
                                        ; implicit-def: $vgpr20
	s_waitcnt lgkmcnt(0)
	v_cmp_gt_u64_e32 vcc, s[0:1], v[14:15]
	v_cmp_le_u64_e64 s[0:1], s[0:1], v[14:15]
	s_and_saveexec_b64 s[20:21], s[0:1]
	s_xor_b64 s[0:1], exec, s[20:21]
; %bb.10:
	s_mov_b32 s14, 0x4a7904b
	v_mul_hi_u32 v1, v0, s14
	v_mul_u32_u24_e32 v1, 55, v1
	v_sub_u32_e32 v16, v0, v1
	v_add_u32_e32 v17, 55, v16
	v_add_u32_e32 v18, 0x6e, v16
	;; [unrolled: 1-line block ×4, first 2 shown]
	s_mov_b32 s14, 0
                                        ; implicit-def: $vgpr0
                                        ; implicit-def: $vgpr2_vgpr3
; %bb.11:
	s_or_saveexec_b64 s[0:1], s[0:1]
	v_mov_b32_e32 v7, s14
	v_mov_b32_e32 v5, s14
	;; [unrolled: 1-line block ×20, first 2 shown]
                                        ; implicit-def: $vgpr77
                                        ; implicit-def: $vgpr78
                                        ; implicit-def: $vgpr10
                                        ; implicit-def: $vgpr79
                                        ; implicit-def: $vgpr25
                                        ; implicit-def: $vgpr80
                                        ; implicit-def: $vgpr34
                                        ; implicit-def: $vgpr75
                                        ; implicit-def: $vgpr82
                                        ; implicit-def: $vgpr8
                                        ; implicit-def: $vgpr84
                                        ; implicit-def: $vgpr85
                                        ; implicit-def: $vgpr26
                                        ; implicit-def: $vgpr28
                                        ; implicit-def: $vgpr29
                                        ; implicit-def: $vgpr31
                                        ; implicit-def: $vgpr72
                                        ; implicit-def: $vgpr73
                                        ; implicit-def: $vgpr76
                                        ; implicit-def: $vgpr81
	s_xor_b64 exec, exec, s[0:1]
	s_cbranch_execz .LBB0_13
; %bb.12:
	s_add_u32 s10, s12, s10
	s_addc_u32 s11, s13, s11
	s_load_dwordx2 s[10:11], s[10:11], 0x0
	s_mov_b32 s12, 0x4a7904b
	s_waitcnt lgkmcnt(0)
	v_mul_lo_u32 v1, s11, v14
	v_mul_lo_u32 v6, s10, v15
	v_mad_u64_u32 v[4:5], s[10:11], s10, v14, 0
	v_add3_u32 v5, v5, v6, v1
	v_mul_hi_u32 v1, v0, s12
	v_mul_u32_u24_e32 v1, 55, v1
	v_sub_u32_e32 v16, v0, v1
	v_mad_u64_u32 v[6:7], s[10:11], s18, v16, 0
	v_mov_b32_e32 v0, v7
	v_mad_u64_u32 v[0:1], s[10:11], s19, v16, v[0:1]
	v_mov_b32_e32 v7, v0
	v_lshl_add_u64 v[0:1], v[4:5], 2, s[4:5]
	v_lshl_add_u64 v[0:1], v[2:3], 2, v[0:1]
	;; [unrolled: 1-line block ×3, first 2 shown]
	v_add_u32_e32 v7, 0x113, v16
	v_mad_u64_u32 v[4:5], s[4:5], s18, v7, 0
	v_mov_b32_e32 v6, v5
	v_mad_u64_u32 v[6:7], s[4:5], s19, v7, v[6:7]
	v_mov_b32_e32 v5, v6
	v_add_u32_e32 v7, 0x226, v16
	v_lshl_add_u64 v[10:11], v[4:5], 2, v[0:1]
	v_mad_u64_u32 v[4:5], s[4:5], s18, v7, 0
	v_mov_b32_e32 v6, v5
	v_mad_u64_u32 v[6:7], s[4:5], s19, v7, v[6:7]
	v_mov_b32_e32 v5, v6
	v_add_u32_e32 v7, 0x339, v16
	v_lshl_add_u64 v[18:19], v[4:5], 2, v[0:1]
	;; [unrolled: 6-line block ×6, first 2 shown]
	v_mad_u64_u32 v[4:5], s[4:5], s18, v17, 0
	v_mov_b32_e32 v6, v5
	v_mad_u64_u32 v[6:7], s[4:5], s19, v17, v[6:7]
	v_mov_b32_e32 v5, v6
	v_lshl_add_u64 v[30:31], v[4:5], 2, v[0:1]
	global_load_dword v5, v[2:3], off
	global_load_dword v7, v[10:11], off
	global_load_dword v9, v[18:19], off
	global_load_dword v54, v[22:23], off
	global_load_dword v21, v[24:25], off
	global_load_dword v55, v[26:27], off
	global_load_dword v8, v[28:29], off
	global_load_dword v4, v[30:31], off
	v_add_u32_e32 v10, 0x14a, v16
	v_mad_u64_u32 v[2:3], s[4:5], s18, v10, 0
	v_mov_b32_e32 v6, v3
	v_add_u32_e32 v18, 0x25d, v16
	v_add_u32_e32 v60, 0x2cb, v16
	s_waitcnt vmcnt(6)
	v_mad_u64_u32 v[10:11], s[4:5], s19, v10, v[6:7]
	v_mov_b32_e32 v3, v10
	v_mad_u64_u32 v[10:11], s[4:5], s18, v18, 0
	v_mov_b32_e32 v6, v11
	;; [unrolled: 2-line block ×3, first 2 shown]
	v_add_u32_e32 v18, 0x370, v16
	v_lshl_add_u64 v[24:25], v[10:11], 2, v[0:1]
	v_mad_u64_u32 v[10:11], s[4:5], s18, v18, 0
	v_mov_b32_e32 v6, v11
	v_mad_u64_u32 v[18:19], s[4:5], s19, v18, v[6:7]
	v_mov_b32_e32 v11, v18
	v_add_u32_e32 v18, 0x483, v16
	v_lshl_add_u64 v[26:27], v[10:11], 2, v[0:1]
	v_mad_u64_u32 v[10:11], s[4:5], s18, v18, 0
	v_mov_b32_e32 v6, v11
	v_mad_u64_u32 v[18:19], s[4:5], s19, v18, v[6:7]
	v_mov_b32_e32 v11, v18
	;; [unrolled: 6-line block ×5, first 2 shown]
	v_add_u32_e32 v19, 0x181, v16
	v_lshl_add_u64 v[36:37], v[10:11], 2, v[0:1]
	v_mad_u64_u32 v[10:11], s[4:5], s18, v19, 0
	v_mov_b32_e32 v6, v11
	v_mad_u64_u32 v[22:23], s[4:5], s19, v19, v[6:7]
	v_lshl_add_u64 v[2:3], v[2:3], 2, v[0:1]
	v_mov_b32_e32 v11, v22
	v_add_u32_e32 v19, 0x294, v16
	v_lshl_add_u64 v[38:39], v[10:11], 2, v[0:1]
	global_load_dword v11, v[2:3], off
	global_load_dword v23, v[24:25], off
	;; [unrolled: 1-line block ×8, first 2 shown]
	v_mad_u64_u32 v[2:3], s[4:5], s18, v19, 0
	v_mov_b32_e32 v20, v3
	s_waitcnt vmcnt(11)
	v_mad_u64_u32 v[24:25], s[4:5], s19, v19, v[20:21]
	v_add_u32_e32 v19, 0x3a7, v16
	v_mov_b32_e32 v3, v24
	v_mad_u64_u32 v[24:25], s[4:5], s18, v19, 0
	v_mov_b32_e32 v20, v25
	v_mad_u64_u32 v[26:27], s[4:5], s19, v19, v[20:21]
	v_mov_b32_e32 v25, v26
	v_add_u32_e32 v19, 0x4ba, v16
	v_lshl_add_u64 v[26:27], v[24:25], 2, v[0:1]
	v_mad_u64_u32 v[24:25], s[4:5], s18, v19, 0
	v_mov_b32_e32 v20, v25
	v_mad_u64_u32 v[28:29], s[4:5], s19, v19, v[20:21]
	v_mov_b32_e32 v25, v28
	v_add_u32_e32 v19, 0x5cd, v16
	v_lshl_add_u64 v[28:29], v[24:25], 2, v[0:1]
	v_mad_u64_u32 v[24:25], s[4:5], s18, v19, 0
	v_mov_b32_e32 v20, v25
	v_mad_u64_u32 v[30:31], s[4:5], s19, v19, v[20:21]
	v_lshl_add_u64 v[2:3], v[2:3], 2, v[0:1]
	v_mov_b32_e32 v25, v30
	v_add_u32_e32 v19, 0x6e0, v16
	v_lshl_add_u64 v[30:31], v[24:25], 2, v[0:1]
	global_load_dword v24, v[2:3], off
	global_load_dword v58, v[26:27], off
	;; [unrolled: 1-line block ×4, first 2 shown]
	v_mad_u64_u32 v[2:3], s[4:5], s18, v19, 0
	v_mov_b32_e32 v20, v3
	v_mad_u64_u32 v[26:27], s[4:5], s19, v19, v[20:21]
	v_add_u32_e32 v19, 0xa5, v16
	v_mov_b32_e32 v3, v26
	v_mad_u64_u32 v[26:27], s[4:5], s18, v19, 0
	v_mov_b32_e32 v20, v27
	v_mad_u64_u32 v[28:29], s[4:5], s19, v19, v[20:21]
	v_mov_b32_e32 v27, v28
	v_add_u32_e32 v25, 0x1b8, v16
	v_lshl_add_u64 v[28:29], v[26:27], 2, v[0:1]
	v_mad_u64_u32 v[26:27], s[4:5], s18, v25, 0
	v_mov_b32_e32 v20, v27
	v_mad_u64_u32 v[30:31], s[4:5], s19, v25, v[20:21]
	v_mov_b32_e32 v27, v30
	v_add_u32_e32 v25, 0x3de, v16
	v_lshl_add_u64 v[36:37], v[26:27], 2, v[0:1]
	;; [unrolled: 6-line block ×9, first 2 shown]
	v_mad_u64_u32 v[26:27], s[4:5], s18, v25, 0
	v_mov_b32_e32 v30, v27
	v_mad_u64_u32 v[30:31], s[4:5], s19, v25, v[30:31]
	v_mov_b32_e32 v27, v30
	v_lshl_add_u64 v[52:53], v[26:27], 2, v[0:1]
	global_load_dword v31, v[38:39], off
	global_load_dword v35, v[40:41], off
	;; [unrolled: 1-line block ×8, first 2 shown]
	v_add_u32_e32 v40, 0x528, v16
	v_mad_u64_u32 v[38:39], s[4:5], s18, v40, 0
	v_mov_b32_e32 v26, v39
	v_add_u32_e32 v42, 0x63b, v16
	v_add_u32_e32 v44, 0x74e, v16
	v_lshl_add_u64 v[2:3], v[2:3], 2, v[0:1]
	s_waitcnt vmcnt(22)
	v_lshrrev_b32_e32 v77, 16, v55
	s_waitcnt vmcnt(15)
	v_lshrrev_b32_e32 v78, 16, v57
	;; [unrolled: 2-line block ×4, first 2 shown]
	s_waitcnt vmcnt(2)
	v_mad_u64_u32 v[40:41], s[4:5], s19, v40, v[26:27]
	v_mov_b32_e32 v39, v40
	v_mad_u64_u32 v[40:41], s[4:5], s18, v42, 0
	v_mov_b32_e32 v26, v41
	;; [unrolled: 2-line block ×4, first 2 shown]
	v_mad_u64_u32 v[44:45], s[4:5], s19, v44, v[26:27]
	v_lshl_add_u64 v[38:39], v[38:39], 2, v[0:1]
	v_mov_b32_e32 v43, v44
	v_lshl_add_u64 v[40:41], v[40:41], 2, v[0:1]
	v_lshl_add_u64 v[42:43], v[42:43], 2, v[0:1]
	global_load_dword v74, v[38:39], off
	global_load_dword v44, v[40:41], off
	;; [unrolled: 1-line block ×3, first 2 shown]
	v_mad_u64_u32 v[38:39], s[4:5], s18, v60, 0
	v_mov_b32_e32 v26, v39
	v_mad_u64_u32 v[40:41], s[4:5], s19, v60, v[26:27]
	v_mov_b32_e32 v39, v40
	global_load_dword v75, v[2:3], off
	v_lshl_add_u64 v[2:3], v[38:39], 2, v[0:1]
	global_load_dword v1, v[28:29], off
	global_load_dword v83, v[36:37], off
	;; [unrolled: 1-line block ×3, first 2 shown]
	s_mov_b32 s4, 0x7060302
	s_mov_b32 s5, 0x5040100
	s_waitcnt vmcnt(7)
	v_lshrrev_b32_e32 v80, 16, v34
	v_perm_b32 v26, v61, v31, s5
	v_perm_b32 v28, v25, v31, s4
	;; [unrolled: 1-line block ×7, first 2 shown]
	s_waitcnt vmcnt(4)
	v_perm_b32 v84, v44, v45, s4
	v_perm_b32 v85, v44, v45, s5
	s_waitcnt vmcnt(3)
	v_perm_b32 v31, v75, v58, s4
.LBB0_13:
	s_or_b64 exec, exec, s[0:1]
	s_mov_b32 s0, 0x5040100
	s_mov_b32 s1, 0x7060302
	v_perm_b32 v88, v9, v21, s0
	v_add_f16_e32 v2, v8, v7
	v_perm_b32 v87, v7, v21, s1
	v_pk_add_f16 v21, v76, v88
	v_sub_f16_sdwa v3, v9, v77 dst_sel:DWORD dst_unused:UNUSED_PAD src0_sel:WORD_1 src1_sel:DWORD
	v_add_f16_sdwa v37, v2, v21 dst_sel:DWORD dst_unused:UNUSED_PAD src0_sel:DWORD src1_sel:WORD_1
	v_sub_f16_e32 v38, v2, v21
	v_alignbit_b32 v2, v2, v21, 16
	v_pk_add_f16 v36, v87, v81 neg_lo:[0,1] neg_hi:[0,1]
	v_pk_add_f16 v2, v21, v2 neg_lo:[0,1] neg_hi:[0,1]
	s_mov_b32 s4, 0x39e02b26
	v_pack_b32_f16 v44, v3, v36
	v_add_f16_e32 v21, v37, v21
	v_mul_f16_e32 v37, 0xba52, v38
	v_pk_mul_f16 v45, v2, s4
	v_add_f16_e32 v43, v3, v36
	v_pk_add_f16 v44, v36, v44 neg_lo:[0,1] neg_hi:[0,1]
	v_sub_f16_sdwa v3, v3, v36 dst_sel:DWORD dst_unused:UNUSED_PAD src0_sel:DWORD src1_sel:WORD_1
	v_alignbit_b32 v37, v37, v45, 16
	s_mov_b32 s5, 0xb5743846
	s_movk_i32 s10, 0x3a52
	s_mov_b32 s11, 0xbcab
	v_add_f16_sdwa v36, v36, v43 dst_sel:DWORD dst_unused:UNUSED_PAD src0_sel:WORD_1 src1_sel:DWORD
	v_add_f16_e32 v43, v21, v5
	v_pk_fma_f16 v2, v2, s4, v37 neg_lo:[1,0,0] neg_hi:[1,0,0]
	v_pk_mul_f16 v37, v44, s5
	v_mul_f16_e32 v3, 0xbb00, v3
	s_mov_b32 s12, 0xb70e
	v_fma_f16 v38, v38, s10, v45
	v_mul_f16_e32 v45, 0xb70e, v36
	v_fma_f16 v21, v21, s11, v43
	v_add_f16_sdwa v37, v37, v37 dst_sel:DWORD dst_unused:UNUSED_PAD src0_sel:WORD_1 src1_sel:DWORD
	v_pk_fma_f16 v3, v44, s5, v3 op_sel_hi:[1,1,0] neg_lo:[1,0,0] neg_hi:[1,0,1]
	v_add_f16_e32 v38, v38, v21
	v_pk_add_f16 v2, v2, v21 op_sel_hi:[1,0]
	v_fma_f16 v21, v36, s12, v37
	v_pk_add_f16 v3, v3, v45 op_sel_hi:[1,0]
	v_add_f16_e32 v36, v38, v21
	v_pk_add_f16 v37, v2, v3
	v_pk_add_f16 v2, v2, v3 neg_lo:[0,1] neg_hi:[0,1]
	s_mov_b32 s13, 0xffff
	v_mad_u32_u24 v0, v16, 14, 0
	v_sub_f16_e32 v3, v38, v21
	v_bfi_b32 v38, s13, v37, v2
	v_alignbit_b32 v37, v2, v37, 16
	v_pack_b32_f16 v36, v43, v36
	v_perm_b32 v90, v23, v33, s0
	v_add_f16_e32 v39, v10, v11
	ds_write_b96 v0, v[36:38]
	ds_write_b16 v0, v3 offset:12
	v_perm_b32 v89, v11, v33, s1
	v_pk_add_f16 v3, v72, v90
	v_sub_f16_sdwa v40, v23, v78 dst_sel:DWORD dst_unused:UNUSED_PAD src0_sel:WORD_1 src1_sel:DWORD
	v_pk_add_f16 v21, v89, v73 neg_lo:[0,1] neg_hi:[0,1]
	v_alignbit_b32 v37, v39, v3, 16
	v_add_f16_sdwa v33, v39, v3 dst_sel:DWORD dst_unused:UNUSED_PAD src0_sel:DWORD src1_sel:WORD_1
	v_sub_f16_e32 v36, v39, v3
	v_pk_add_f16 v37, v3, v37 neg_lo:[0,1] neg_hi:[0,1]
	v_add_f16_e32 v38, v40, v21
	v_pack_b32_f16 v39, v40, v21
	v_pk_add_f16 v39, v21, v39 neg_lo:[0,1] neg_hi:[0,1]
	v_sub_f16_sdwa v40, v40, v21 dst_sel:DWORD dst_unused:UNUSED_PAD src0_sel:DWORD src1_sel:WORD_1
	v_add_f16_sdwa v21, v21, v38 dst_sel:DWORD dst_unused:UNUSED_PAD src0_sel:WORD_1 src1_sel:DWORD
	v_mul_f16_e32 v38, 0xba52, v36
	v_pk_mul_f16 v43, v37, s4
	v_add_f16_e32 v3, v33, v3
	v_alignbit_b32 v38, v38, v43, 16
	v_add_f16_e32 v33, v3, v4
	v_pk_fma_f16 v37, v37, s4, v38 neg_lo:[1,0,0] neg_hi:[1,0,0]
	v_pk_mul_f16 v38, v39, s5
	v_mul_f16_e32 v40, 0xbb00, v40
	v_fma_f16 v36, v36, s10, v43
	v_mul_f16_e32 v43, 0xb70e, v21
	v_fma_f16 v3, v3, s11, v33
	v_add_f16_sdwa v38, v38, v38 dst_sel:DWORD dst_unused:UNUSED_PAD src0_sel:WORD_1 src1_sel:DWORD
	v_pk_fma_f16 v39, v39, s5, v40 op_sel_hi:[1,1,0] neg_lo:[1,0,0] neg_hi:[1,0,1]
	v_add_f16_e32 v40, v36, v3
	v_pk_add_f16 v3, v37, v3 op_sel_hi:[1,0]
	v_fma_f16 v21, v21, s12, v38
	v_pk_add_f16 v36, v39, v43 op_sel_hi:[1,0]
	v_add_f16_e32 v39, v40, v21
	v_pk_add_f16 v37, v3, v36
	v_pk_add_f16 v3, v3, v36 neg_lo:[0,1] neg_hi:[0,1]
	v_perm_b32 v92, v24, v32, s0
	v_add_f16_e32 v41, v75, v22
	v_mad_i32_i24 v2, v17, 14, 0
	v_bfi_b32 v38, s13, v37, v3
	v_alignbit_b32 v37, v3, v37, 16
	v_pack_b32_f16 v36, v33, v39
	v_pk_add_f16 v3, v29, v92
	ds_write_b96 v2, v[36:38]
	v_perm_b32 v91, v22, v32, s1
	v_alignbit_b32 v37, v41, v3, 16
	v_sub_f16_sdwa v42, v24, v82 dst_sel:DWORD dst_unused:UNUSED_PAD src0_sel:WORD_1 src1_sel:DWORD
	v_pk_add_f16 v32, v91, v31 neg_lo:[0,1] neg_hi:[0,1]
	v_add_f16_sdwa v33, v41, v3 dst_sel:DWORD dst_unused:UNUSED_PAD src0_sel:DWORD src1_sel:WORD_1
	v_sub_f16_e32 v36, v41, v3
	v_pk_add_f16 v37, v3, v37 neg_lo:[0,1] neg_hi:[0,1]
	v_add_f16_e32 v38, v42, v32
	v_pack_b32_f16 v39, v42, v32
	v_sub_f16_sdwa v41, v42, v32 dst_sel:DWORD dst_unused:UNUSED_PAD src0_sel:DWORD src1_sel:WORD_1
	v_add_f16_e32 v3, v33, v3
	v_mul_f16_e32 v33, 0xba52, v36
	v_pk_mul_f16 v42, v37, s4
	v_pk_add_f16 v39, v32, v39 neg_lo:[0,1] neg_hi:[0,1]
	v_add_f16_sdwa v32, v32, v38 dst_sel:DWORD dst_unused:UNUSED_PAD src0_sel:WORD_1 src1_sel:DWORD
	v_alignbit_b32 v33, v33, v42, 16
	v_mul_f16_e32 v38, 0xbb00, v41
	v_add_f16_e32 v41, v3, v6
	v_pk_fma_f16 v33, v37, s4, v33 neg_lo:[1,0,0] neg_hi:[1,0,0]
	v_mul_f16_e32 v37, 0xb70e, v32
	v_pk_fma_f16 v38, v39, s5, v38 op_sel_hi:[1,1,0] neg_lo:[1,0,0] neg_hi:[1,0,1]
	v_fma_f16 v3, v3, s11, v41
	v_pk_add_f16 v37, v38, v37 op_sel_hi:[1,0]
	v_pk_add_f16 v33, v33, v3 op_sel_hi:[1,0]
	v_sub_f16_e32 v21, v40, v21
	v_pk_add_f16 v43, v33, v37
	v_pk_add_f16 v33, v33, v37 neg_lo:[0,1] neg_hi:[0,1]
	s_waitcnt vmcnt(0)
	v_perm_b32 v95, v86, v35, s0
	v_bfi_b32 v38, s13, v43, v33
	v_alignbit_b32 v37, v33, v43, 16
	v_fma_f16 v33, v36, s10, v42
	v_pk_mul_f16 v36, v39, s5
	v_add_f16_e32 v33, v33, v3
	v_add_f16_sdwa v36, v36, v36 dst_sel:DWORD dst_unused:UNUSED_PAD src0_sel:WORD_1 src1_sel:DWORD
	v_fma_f16 v32, v32, s12, v36
	v_add_f16_e32 v36, v33, v32
	ds_write_b16 v2, v21 offset:12
	v_add_f16_e32 v21, v25, v83
	v_mad_i32_i24 v3, v18, 14, 0
	v_pack_b32_f16 v36, v41, v36
	v_perm_b32 v94, v83, v35, s1
	v_pk_add_f16 v35, v26, v95
	v_sub_f16_sdwa v40, v86, v79 dst_sel:DWORD dst_unused:UNUSED_PAD src0_sel:WORD_1 src1_sel:DWORD
	ds_write_b96 v3, v[36:38]
	v_pk_add_f16 v36, v94, v28 neg_lo:[0,1] neg_hi:[0,1]
	v_add_f16_sdwa v37, v21, v35 dst_sel:DWORD dst_unused:UNUSED_PAD src0_sel:DWORD src1_sel:WORD_1
	v_sub_f16_e32 v39, v21, v35
	v_alignbit_b32 v21, v21, v35, 16
	v_pk_add_f16 v21, v35, v21 neg_lo:[0,1] neg_hi:[0,1]
	v_add_f16_e32 v35, v37, v35
	v_pack_b32_f16 v37, v40, v36
	v_pk_add_f16 v41, v36, v37 neg_lo:[0,1] neg_hi:[0,1]
	v_add_f16_e32 v37, v40, v36
	v_sub_f16_sdwa v38, v40, v36 dst_sel:DWORD dst_unused:UNUSED_PAD src0_sel:DWORD src1_sel:WORD_1
	v_add_f16_sdwa v36, v36, v37 dst_sel:DWORD dst_unused:UNUSED_PAD src0_sel:WORD_1 src1_sel:DWORD
	v_pk_mul_f16 v40, v21, s4
	v_mul_f16_e32 v37, 0xba52, v39
	v_alignbit_b32 v37, v37, v40, 16
	v_pk_fma_f16 v21, v21, s4, v37 neg_lo:[1,0,0] neg_hi:[1,0,0]
	v_mul_f16_e32 v37, 0xbb00, v38
	v_add_f16_e32 v42, v35, v1
	v_pk_fma_f16 v37, v41, s5, v37 op_sel_hi:[1,1,0] neg_lo:[1,0,0] neg_hi:[1,0,1]
	v_mul_f16_e32 v38, 0xb70e, v36
	v_fma_f16 v35, v35, s11, v42
	v_pk_add_f16 v37, v37, v38 op_sel_hi:[1,0]
	v_pk_add_f16 v21, v21, v35 op_sel_hi:[1,0]
	v_perm_b32 v99, v30, v27, s0
	v_pk_add_f16 v43, v21, v37
	v_pk_add_f16 v21, v21, v37 neg_lo:[0,1] neg_hi:[0,1]
	v_perm_b32 v100, v30, v27, s1
	v_bfi_b32 v38, s13, v43, v21
	v_alignbit_b32 v37, v21, v43, 16
	v_fma_f16 v21, v39, s10, v40
	v_add_f16_e32 v21, v21, v35
	v_pk_mul_f16 v35, v41, s5
	v_pk_add_f16 v27, v85, v99
	v_add_f16_sdwa v35, v35, v35 dst_sel:DWORD dst_unused:UNUSED_PAD src0_sel:WORD_1 src1_sel:DWORD
	v_fma_f16 v39, v36, s12, v35
	v_add_f16_e32 v35, v21, v39
	v_sub_f16_e32 v30, v33, v32
	v_add_f16_e32 v32, v34, v74
	v_pack_b32_f16 v36, v42, v35
	ds_write_b16 v3, v30 offset:12
	v_add_f16_sdwa v30, v27, v27 dst_sel:DWORD dst_unused:UNUSED_PAD src0_sel:DWORD src1_sel:WORD_1
	v_sub_f16_sdwa v33, v27, v27 dst_sel:DWORD dst_unused:UNUSED_PAD src0_sel:WORD_1 src1_sel:DWORD
	v_sub_f16_e32 v35, v27, v32
	v_sub_f16_sdwa v27, v32, v27 dst_sel:DWORD dst_unused:UNUSED_PAD src0_sel:DWORD src1_sel:WORD_1
	v_mad_i32_i24 v93, v19, 14, 0
	v_add_f16_e32 v30, v30, v32
	v_mul_f16_e32 v32, 0x3a52, v35
	v_mul_f16_e32 v27, 0x2b26, v27
	s_movk_i32 s13, 0x39e0
	s_mov_b32 s14, 0xb9e0
	ds_write_b96 v93, v[36:38]
	v_fma_f16 v35, v35, s10, v27
	v_fma_f16 v27, v33, s13, -v27
	v_fma_f16 v32, v33, s14, -v32
	v_pk_add_f16 v33, v100, v84 neg_lo:[0,1] neg_hi:[0,1]
	v_sub_f16_sdwa v36, v74, v80 dst_sel:DWORD dst_unused:UNUSED_PAD src0_sel:WORD_1 src1_sel:DWORD
	v_add_f16_sdwa v37, v33, v36 dst_sel:DWORD dst_unused:UNUSED_PAD src0_sel:WORD_1 src1_sel:DWORD
	v_sub_f16_sdwa v38, v36, v33 dst_sel:DWORD dst_unused:UNUSED_PAD src0_sel:DWORD src1_sel:WORD_1
	v_sub_f16_e32 v36, v33, v36
	v_add_f16_e32 v37, v33, v37
	v_sub_f16_sdwa v33, v33, v33 dst_sel:DWORD dst_unused:UNUSED_PAD src0_sel:WORD_1 src1_sel:DWORD
	v_mul_f16_e32 v38, 0x3846, v38
	s_mov_b32 s15, 0xbb00
	s_mov_b32 s18, 0xb574
	v_mul_f16_e32 v40, 0xbb00, v33
	s_movk_i32 s19, 0x3574
	v_fma_f16 v33, v33, s15, -v38
	v_fma_f16 v38, v36, s18, v38
	v_fma_f16 v36, v36, s19, -v40
	v_add_f16_e32 v40, v30, v71
	v_fma_f16 v30, v30, s11, v40
	v_add_f16_e32 v35, v35, v30
	v_add_f16_e32 v27, v27, v30
	;; [unrolled: 1-line block ×3, first 2 shown]
	v_fma_f16 v32, v37, s12, v38
	v_fma_f16 v33, v37, s12, v33
	;; [unrolled: 1-line block ×3, first 2 shown]
	v_add_f16_e32 v36, v35, v32
	v_add_f16_e32 v37, v30, v38
	v_sub_f16_e32 v41, v27, v33
	v_add_f16_e32 v33, v27, v33
	v_sub_f16_e32 v27, v30, v38
	v_sub_f16_e32 v21, v21, v39
	v_pack_b32_f16 v37, v37, v41
	v_pack_b32_f16 v36, v40, v36
	v_sub_f16_e32 v35, v35, v32
	ds_write_b16 v93, v21 offset:12
	v_mad_i32_i24 v21, v20, 14, 0
	v_pack_b32_f16 v38, v33, v27
	v_mad_i32_i24 v32, v17, -12, v2
	v_mad_i32_i24 v30, v18, -12, v3
	s_load_dwordx2 s[2:3], s[2:3], 0x0
	ds_write_b96 v21, v[36:38]
	ds_write_b16 v21, v35 offset:12
	s_waitcnt lgkmcnt(0)
	; wave barrier
	s_waitcnt lgkmcnt(0)
	v_mad_i32_i24 v21, v16, -12, v0
	ds_read_u16 v30, v30
	ds_read_u16 v33, v21
	ds_read_u16 v62, v21 offset:350
	ds_read_u16 v60, v21 offset:460
	;; [unrolled: 1-line block ×23, first 2 shown]
	ds_read_u16 v32, v32
	ds_read_u16 v36, v21 offset:3720
	ds_read_u16 v50, v21 offset:3610
	;; [unrolled: 1-line block ×7, first 2 shown]
	v_cmp_gt_u32_e64 s[0:1], 10, v16
	v_mul_i32_i24_e32 v98, 14, v20
	v_mul_i32_i24_e32 v97, -12, v17
	v_mul_i32_i24_e32 v96, -12, v18
                                        ; implicit-def: $vgpr111
                                        ; implicit-def: $vgpr110
                                        ; implicit-def: $vgpr108
                                        ; implicit-def: $vgpr43
                                        ; implicit-def: $vgpr44
                                        ; implicit-def: $vgpr40
                                        ; implicit-def: $vgpr37
                                        ; implicit-def: $vgpr39
                                        ; implicit-def: $vgpr109
	s_and_saveexec_b64 s[4:5], s[0:1]
	s_cbranch_execz .LBB0_15
; %bb.14:
	v_mad_i32_i24 v27, v19, -12, v93
	ds_read_u16 v35, v21 offset:680
	ds_read_u16 v111, v21 offset:1030
	ds_read_u16 v110, v21 offset:1380
	ds_read_u16 v108, v21 offset:1730
	ds_read_u16 v43, v21 offset:2080
	ds_read_u16 v109, v21 offset:2430
	ds_read_u16 v39, v21 offset:2780
	ds_read_u16 v37, v21 offset:3130
	ds_read_u16 v40, v21 offset:3480
	ds_read_u16 v27, v27
	ds_read_u16 v44, v21 offset:3830
.LBB0_15:
	s_or_b64 exec, exec, s[4:5]
	v_sub_f16_e32 v7, v7, v8
	v_add_f16_sdwa v8, v77, v9 dst_sel:DWORD dst_unused:UNUSED_PAD src0_sel:DWORD src1_sel:WORD_1
	v_sub_f16_e32 v9, v11, v10
	v_sub_f16_e32 v11, v22, v75
	v_pk_add_f16 v75, v84, v100
	v_add_f16_sdwa v10, v78, v23 dst_sel:DWORD dst_unused:UNUSED_PAD src0_sel:DWORD src1_sel:WORD_1
	v_sub_f16_e32 v23, v83, v25
	v_pk_add_f16 v25, v99, v85 neg_lo:[0,1] neg_hi:[0,1]
	v_add_f16_sdwa v77, v80, v74 dst_sel:DWORD dst_unused:UNUSED_PAD src0_sel:DWORD src1_sel:WORD_1
	v_sub_f16_e32 v34, v74, v34
	v_add_f16_sdwa v74, v75, v75 dst_sel:DWORD dst_unused:UNUSED_PAD src0_sel:DWORD src1_sel:WORD_1
	v_add_f16_sdwa v22, v82, v24 dst_sel:DWORD dst_unused:UNUSED_PAD src0_sel:DWORD src1_sel:WORD_1
	;; [unrolled: 1-line block ×3, first 2 shown]
	v_sub_f16_sdwa v78, v75, v75 dst_sel:DWORD dst_unused:UNUSED_PAD src0_sel:WORD_1 src1_sel:DWORD
	v_sub_f16_e32 v79, v75, v77
	v_sub_f16_sdwa v75, v77, v75 dst_sel:DWORD dst_unused:UNUSED_PAD src0_sel:DWORD src1_sel:WORD_1
	v_add_f16_sdwa v80, v25, v34 dst_sel:DWORD dst_unused:UNUSED_PAD src0_sel:WORD_1 src1_sel:DWORD
	v_sub_f16_sdwa v82, v34, v25 dst_sel:DWORD dst_unused:UNUSED_PAD src0_sel:DWORD src1_sel:WORD_1
	v_sub_f16_sdwa v83, v25, v25 dst_sel:DWORD dst_unused:UNUSED_PAD src0_sel:WORD_1 src1_sel:DWORD
	v_add_f16_e32 v74, v74, v77
	v_sub_f16_e32 v34, v25, v34
	v_add_f16_e32 v25, v25, v80
	v_add_f16_sdwa v71, v74, v71 dst_sel:DWORD dst_unused:UNUSED_PAD src0_sel:DWORD src1_sel:WORD_1
	v_mul_f16_e32 v77, 0x3a52, v79
	v_mul_f16_e32 v75, 0x2b26, v75
	v_mul_f16_e32 v80, 0x3846, v82
	v_mul_f16_e32 v82, 0xbb00, v83
	v_fma_f16 v74, v74, s11, v71
	v_fma_f16 v79, v79, s10, v75
	v_fma_f16 v75, v78, s13, -v75
	v_fma_f16 v77, v78, s14, -v77
	v_fma_f16 v78, v34, s18, v80
	v_fma_f16 v80, v83, s15, -v80
	v_fma_f16 v34, v34, s19, -v82
	v_add_f16_e32 v79, v79, v74
	v_add_f16_e32 v75, v75, v74
	;; [unrolled: 1-line block ×3, first 2 shown]
	v_fma_f16 v77, v25, s12, v78
	v_fma_f16 v78, v25, s12, v80
	;; [unrolled: 1-line block ×3, first 2 shown]
	v_sub_f16_e32 v80, v74, v25
	v_add_f16_e32 v25, v25, v74
	v_pk_add_f16 v74, v81, v87
	v_sub_f16_e32 v34, v79, v77
	v_add_f16_e32 v113, v77, v79
	v_pk_add_f16 v76, v88, v76 neg_lo:[0,1] neg_hi:[0,1]
	v_add_f16_sdwa v77, v74, v8 dst_sel:DWORD dst_unused:UNUSED_PAD src0_sel:WORD_1 src1_sel:DWORD
	v_add_f16_e32 v82, v78, v75
	v_sub_f16_e32 v75, v75, v78
	v_sub_f16_sdwa v78, v8, v74 dst_sel:DWORD dst_unused:UNUSED_PAD src0_sel:DWORD src1_sel:WORD_1
	v_sub_f16_sdwa v79, v74, v74 dst_sel:DWORD dst_unused:UNUSED_PAD src0_sel:WORD_1 src1_sel:DWORD
	v_sub_f16_e32 v8, v74, v8
	v_add_f16_sdwa v81, v76, v76 dst_sel:DWORD dst_unused:UNUSED_PAD src0_sel:WORD_1 src1_sel:DWORD
	v_sub_f16_sdwa v83, v76, v76 dst_sel:DWORD dst_unused:UNUSED_PAD src0_sel:DWORD src1_sel:WORD_1
	v_sub_f16_e32 v84, v7, v76
	v_sub_f16_sdwa v76, v76, v7 dst_sel:DWORD dst_unused:UNUSED_PAD src0_sel:WORD_1 src1_sel:DWORD
	v_add_f16_e32 v74, v77, v74
	v_add_f16_e32 v7, v7, v81
	v_add_f16_sdwa v77, v74, v5 dst_sel:DWORD dst_unused:UNUSED_PAD src0_sel:DWORD src1_sel:WORD_1
	v_mul_f16_e32 v5, 0x3a52, v79
	v_mul_f16_e32 v8, 0x2b26, v8
	;; [unrolled: 1-line block ×4, first 2 shown]
	v_fma_f16 v74, v74, s11, v77
	v_fma_f16 v79, v79, s10, v8
	v_fma_f16 v8, v78, s13, -v8
	v_fma_f16 v5, v78, s14, -v5
	v_fma_f16 v78, v84, s18, v81
	v_fma_f16 v76, v76, s15, -v81
	v_fma_f16 v81, v84, s19, -v83
	v_add_f16_e32 v79, v79, v74
	v_add_f16_e32 v8, v8, v74
	;; [unrolled: 1-line block ×3, first 2 shown]
	v_fma_f16 v74, v7, s12, v78
	v_fma_f16 v76, v7, s12, v76
	v_fma_f16 v7, v7, s12, v81
	v_pk_add_f16 v73, v73, v89
	v_sub_f16_e32 v78, v79, v74
	v_sub_f16_e32 v81, v5, v7
	v_add_f16_e32 v5, v7, v5
	v_add_f16_e32 v7, v74, v79
	v_pk_add_f16 v72, v90, v72 neg_lo:[0,1] neg_hi:[0,1]
	v_add_f16_sdwa v74, v73, v10 dst_sel:DWORD dst_unused:UNUSED_PAD src0_sel:WORD_1 src1_sel:DWORD
	v_add_f16_e32 v83, v76, v8
	v_sub_f16_e32 v8, v8, v76
	v_sub_f16_sdwa v76, v10, v73 dst_sel:DWORD dst_unused:UNUSED_PAD src0_sel:DWORD src1_sel:WORD_1
	v_sub_f16_sdwa v79, v73, v73 dst_sel:DWORD dst_unused:UNUSED_PAD src0_sel:WORD_1 src1_sel:DWORD
	v_sub_f16_e32 v10, v73, v10
	v_add_f16_sdwa v84, v72, v72 dst_sel:DWORD dst_unused:UNUSED_PAD src0_sel:WORD_1 src1_sel:DWORD
	v_sub_f16_sdwa v85, v72, v72 dst_sel:DWORD dst_unused:UNUSED_PAD src0_sel:DWORD src1_sel:WORD_1
	v_sub_f16_e32 v86, v9, v72
	v_sub_f16_sdwa v72, v72, v9 dst_sel:DWORD dst_unused:UNUSED_PAD src0_sel:WORD_1 src1_sel:DWORD
	v_add_f16_e32 v73, v74, v73
	v_add_f16_e32 v9, v9, v84
	v_add_f16_sdwa v74, v73, v4 dst_sel:DWORD dst_unused:UNUSED_PAD src0_sel:DWORD src1_sel:WORD_1
	v_mul_f16_e32 v4, 0x3a52, v79
	v_mul_f16_e32 v10, 0x2b26, v10
	;; [unrolled: 1-line block ×4, first 2 shown]
	v_fma_f16 v73, v73, s11, v74
	v_fma_f16 v79, v79, s10, v10
	v_fma_f16 v10, v76, s13, -v10
	v_fma_f16 v4, v76, s14, -v4
	v_fma_f16 v76, v86, s18, v84
	v_fma_f16 v72, v72, s15, -v84
	v_fma_f16 v84, v86, s19, -v85
	v_add_f16_e32 v79, v79, v73
	v_add_f16_e32 v10, v10, v73
	;; [unrolled: 1-line block ×3, first 2 shown]
	v_fma_f16 v73, v9, s12, v76
	v_fma_f16 v72, v9, s12, v72
	;; [unrolled: 1-line block ×3, first 2 shown]
	v_sub_f16_e32 v84, v4, v9
	v_add_f16_e32 v9, v9, v4
	v_pk_add_f16 v4, v31, v91
	v_pk_add_f16 v29, v92, v29 neg_lo:[0,1] neg_hi:[0,1]
	v_add_f16_sdwa v31, v4, v22 dst_sel:DWORD dst_unused:UNUSED_PAD src0_sel:WORD_1 src1_sel:DWORD
	v_sub_f16_e32 v76, v79, v73
	v_add_f16_e32 v85, v72, v10
	v_sub_f16_e32 v10, v10, v72
	v_add_f16_e32 v72, v73, v79
	v_sub_f16_sdwa v73, v22, v4 dst_sel:DWORD dst_unused:UNUSED_PAD src0_sel:DWORD src1_sel:WORD_1
	v_sub_f16_sdwa v79, v4, v4 dst_sel:DWORD dst_unused:UNUSED_PAD src0_sel:WORD_1 src1_sel:DWORD
	v_sub_f16_e32 v22, v4, v22
	v_add_f16_sdwa v86, v29, v29 dst_sel:DWORD dst_unused:UNUSED_PAD src0_sel:WORD_1 src1_sel:DWORD
	v_sub_f16_sdwa v87, v29, v29 dst_sel:DWORD dst_unused:UNUSED_PAD src0_sel:DWORD src1_sel:WORD_1
	v_sub_f16_e32 v88, v11, v29
	v_sub_f16_sdwa v29, v29, v11 dst_sel:DWORD dst_unused:UNUSED_PAD src0_sel:WORD_1 src1_sel:DWORD
	v_add_f16_e32 v4, v31, v4
	v_add_f16_e32 v11, v11, v86
	v_add_f16_sdwa v31, v4, v6 dst_sel:DWORD dst_unused:UNUSED_PAD src0_sel:DWORD src1_sel:WORD_1
	v_mul_f16_e32 v6, 0x3a52, v79
	v_mul_f16_e32 v22, 0x2b26, v22
	;; [unrolled: 1-line block ×4, first 2 shown]
	v_fma_f16 v4, v4, s11, v31
	v_fma_f16 v79, v79, s10, v22
	v_fma_f16 v22, v73, s13, -v22
	v_fma_f16 v6, v73, s14, -v6
	v_fma_f16 v73, v88, s18, v86
	v_fma_f16 v29, v29, s15, -v86
	v_fma_f16 v86, v88, s19, -v87
	v_add_f16_e32 v79, v79, v4
	v_add_f16_e32 v22, v22, v4
	;; [unrolled: 1-line block ×3, first 2 shown]
	v_fma_f16 v6, v11, s12, v73
	v_fma_f16 v29, v11, s12, v29
	;; [unrolled: 1-line block ×3, first 2 shown]
	v_sub_f16_e32 v86, v4, v11
	v_add_f16_e32 v11, v11, v4
	v_pk_add_f16 v4, v28, v94
	v_sub_f16_e32 v73, v79, v6
	v_add_f16_e32 v87, v29, v22
	v_sub_f16_e32 v22, v22, v29
	v_add_f16_e32 v29, v6, v79
	v_pk_add_f16 v6, v95, v26 neg_lo:[0,1] neg_hi:[0,1]
	v_add_f16_sdwa v26, v4, v24 dst_sel:DWORD dst_unused:UNUSED_PAD src0_sel:WORD_1 src1_sel:DWORD
	v_sub_f16_sdwa v28, v24, v4 dst_sel:DWORD dst_unused:UNUSED_PAD src0_sel:DWORD src1_sel:WORD_1
	v_sub_f16_sdwa v79, v4, v4 dst_sel:DWORD dst_unused:UNUSED_PAD src0_sel:WORD_1 src1_sel:DWORD
	v_sub_f16_e32 v24, v4, v24
	v_add_f16_sdwa v88, v6, v6 dst_sel:DWORD dst_unused:UNUSED_PAD src0_sel:WORD_1 src1_sel:DWORD
	v_sub_f16_sdwa v89, v6, v6 dst_sel:DWORD dst_unused:UNUSED_PAD src0_sel:DWORD src1_sel:WORD_1
	v_sub_f16_e32 v90, v23, v6
	v_sub_f16_sdwa v6, v6, v23 dst_sel:DWORD dst_unused:UNUSED_PAD src0_sel:WORD_1 src1_sel:DWORD
	v_add_f16_e32 v4, v26, v4
	v_add_f16_e32 v23, v23, v88
	v_add_f16_sdwa v1, v4, v1 dst_sel:DWORD dst_unused:UNUSED_PAD src0_sel:DWORD src1_sel:WORD_1
	v_mul_f16_e32 v26, 0x3a52, v79
	v_mul_f16_e32 v24, 0x2b26, v24
	;; [unrolled: 1-line block ×4, first 2 shown]
	v_fma_f16 v4, v4, s11, v1
	v_fma_f16 v79, v79, s10, v24
	v_fma_f16 v24, v28, s13, -v24
	v_fma_f16 v26, v28, s14, -v26
	v_fma_f16 v28, v90, s18, v88
	v_fma_f16 v6, v6, s15, -v88
	v_fma_f16 v88, v90, s19, -v89
	v_add_f16_e32 v79, v79, v4
	v_add_f16_e32 v24, v24, v4
	v_add_f16_e32 v4, v26, v4
	v_fma_f16 v26, v23, s12, v28
	v_fma_f16 v6, v23, s12, v6
	;; [unrolled: 1-line block ×3, first 2 shown]
	v_sub_f16_e32 v88, v4, v23
	v_add_f16_e32 v89, v6, v24
	v_sub_f16_e32 v24, v24, v6
	v_add_f16_e32 v23, v23, v4
	v_pack_b32_f16 v6, v8, v5
	v_pack_b32_f16 v5, v81, v83
	v_pack_b32_f16 v4, v77, v78
	s_waitcnt lgkmcnt(0)
	; wave barrier
	s_waitcnt lgkmcnt(0)
	ds_write_b96 v0, v[4:6]
	ds_write_b16 v0, v7 offset:12
	v_pack_b32_f16 v6, v10, v9
	v_pack_b32_f16 v5, v84, v85
	;; [unrolled: 1-line block ×3, first 2 shown]
	v_sub_f16_e32 v28, v79, v26
	ds_write_b96 v2, v[4:6]
	ds_write_b16 v2, v72 offset:12
	v_pack_b32_f16 v6, v22, v11
	v_pack_b32_f16 v5, v86, v87
	;; [unrolled: 1-line block ×3, first 2 shown]
	ds_write_b96 v3, v[4:6]
	ds_write_b16 v3, v29 offset:12
	v_pack_b32_f16 v6, v24, v23
	v_pack_b32_f16 v5, v88, v89
	;; [unrolled: 1-line block ×3, first 2 shown]
	v_add_f16_e32 v26, v26, v79
	ds_write_b96 v93, v[4:6]
	ds_write_b16 v93, v26 offset:12
	v_add_u32_e32 v0, 0, v98
	v_pack_b32_f16 v6, v75, v25
	v_pack_b32_f16 v5, v80, v82
	;; [unrolled: 1-line block ×3, first 2 shown]
	v_add_u32_e32 v23, v3, v96
	ds_write_b96 v0, v[4:6]
	ds_write_b16 v0, v113 offset:12
	s_waitcnt lgkmcnt(0)
	; wave barrier
	s_waitcnt lgkmcnt(0)
	v_add_u32_e32 v22, v2, v97
	ds_read_u16 v34, v21
	ds_read_u16 v78, v21 offset:350
	ds_read_u16 v76, v21 offset:460
	;; [unrolled: 1-line block ×11, first 2 shown]
	ds_read_u16 v29, v23
	ds_read_u16 v80, v21 offset:1050
	ds_read_u16 v127, v21 offset:920
	;; [unrolled: 1-line block ×14, first 2 shown]
	ds_read_u16 v31, v22
	ds_read_u16 v75, v21 offset:3720
	ds_read_u16 v106, v21 offset:3500
	;; [unrolled: 1-line block ×5, first 2 shown]
	v_lshl_add_u32 v24, v19, 1, 0
                                        ; implicit-def: $vgpr122
                                        ; implicit-def: $vgpr121
                                        ; implicit-def: $vgpr119
                                        ; implicit-def: $vgpr118
                                        ; implicit-def: $vgpr114
                                        ; implicit-def: $vgpr115
                                        ; implicit-def: $vgpr116
                                        ; implicit-def: $vgpr117
                                        ; implicit-def: $vgpr120
	s_and_saveexec_b64 s[4:5], s[0:1]
	s_cbranch_execz .LBB0_17
; %bb.16:
	ds_read_u16 v113, v21 offset:680
	ds_read_u16 v122, v21 offset:1030
	;; [unrolled: 1-line block ×9, first 2 shown]
	ds_read_u16 v25, v24
	ds_read_u16 v114, v21 offset:3830
.LBB0_17:
	s_or_b64 exec, exec, s[4:5]
	v_mov_b32_e32 v26, 37
	v_mul_lo_u16_sdwa v0, v16, v26 dst_sel:DWORD dst_unused:UNUSED_PAD src0_sel:BYTE_0 src1_sel:DWORD
	v_sub_u16_sdwa v1, v16, v0 dst_sel:DWORD dst_unused:UNUSED_PAD src0_sel:DWORD src1_sel:BYTE_1
	v_lshrrev_b16_e32 v1, 1, v1
	v_and_b32_e32 v1, 0x7f, v1
	v_mul_lo_u16_sdwa v9, v17, v26 dst_sel:DWORD dst_unused:UNUSED_PAD src0_sel:BYTE_0 src1_sel:DWORD
	v_add_u16_sdwa v0, v1, v0 dst_sel:DWORD dst_unused:UNUSED_PAD src0_sel:DWORD src1_sel:BYTE_1
	v_sub_u16_sdwa v10, v17, v9 dst_sel:DWORD dst_unused:UNUSED_PAD src0_sel:DWORD src1_sel:BYTE_1
	v_lshrrev_b16_e32 v103, 2, v0
	v_lshrrev_b16_e32 v10, 1, v10
	v_mul_lo_u16_e32 v0, 7, v103
	v_and_b32_e32 v10, 0x7f, v10
	v_sub_u16_e32 v104, v16, v0
	v_mov_b32_e32 v83, 10
	v_add_u16_sdwa v9, v10, v9 dst_sel:DWORD dst_unused:UNUSED_PAD src0_sel:DWORD src1_sel:BYTE_1
	v_mul_u32_u24_sdwa v0, v104, v83 dst_sel:DWORD dst_unused:UNUSED_PAD src0_sel:BYTE_0 src1_sel:DWORD
	v_lshrrev_b16_e32 v96, 2, v9
	v_lshlrev_b32_e32 v8, 2, v0
	v_mul_lo_u16_e32 v9, 7, v96
	global_load_dwordx4 v[0:3], v8, s[8:9]
	global_load_dwordx4 v[4:7], v8, s[8:9] offset:16
	v_sub_u16_e32 v98, v17, v9
	global_load_dwordx2 v[144:145], v8, s[8:9] offset:32
	v_mul_u32_u24_sdwa v8, v98, v83 dst_sel:DWORD dst_unused:UNUSED_PAD src0_sel:BYTE_0 src1_sel:DWORD
	v_lshlrev_b32_e32 v85, 2, v8
	global_load_dwordx4 v[8:11], v85, s[8:9]
	global_load_dwordx4 v[132:135], v85, s[8:9] offset:16
	v_mul_lo_u16_sdwa v28, v18, v26 dst_sel:DWORD dst_unused:UNUSED_PAD src0_sel:BYTE_0 src1_sel:DWORD
	v_mul_lo_u16_sdwa v26, v19, v26 dst_sel:DWORD dst_unused:UNUSED_PAD src0_sel:BYTE_0 src1_sel:DWORD
	v_sub_u16_sdwa v87, v18, v28 dst_sel:DWORD dst_unused:UNUSED_PAD src0_sel:DWORD src1_sel:BYTE_1
	v_sub_u16_sdwa v88, v19, v26 dst_sel:DWORD dst_unused:UNUSED_PAD src0_sel:DWORD src1_sel:BYTE_1
	v_lshrrev_b16_e32 v87, 1, v87
	v_lshrrev_b16_e32 v88, 1, v88
	v_and_b32_e32 v87, 0x7f, v87
	v_and_b32_e32 v88, 0x7f, v88
	v_add_u16_sdwa v28, v87, v28 dst_sel:DWORD dst_unused:UNUSED_PAD src0_sel:DWORD src1_sel:BYTE_1
	v_add_u16_sdwa v26, v88, v26 dst_sel:DWORD dst_unused:UNUSED_PAD src0_sel:DWORD src1_sel:BYTE_1
	v_lshrrev_b16_e32 v107, 2, v28
	v_lshrrev_b16_e32 v26, 2, v26
	v_mul_lo_u16_e32 v28, 7, v107
	global_load_dwordx2 v[148:149], v85, s[8:9] offset:32
	v_mul_lo_u16_e32 v87, 7, v26
	v_sub_u16_e32 v112, v18, v28
	v_sub_u16_e32 v28, v19, v87
	v_mul_u32_u24_sdwa v87, v112, v83 dst_sel:DWORD dst_unused:UNUSED_PAD src0_sel:BYTE_0 src1_sel:DWORD
	v_lshlrev_b32_e32 v99, 2, v87
	global_load_dwordx4 v[136:139], v99, s[8:9]
	global_load_dwordx4 v[140:143], v99, s[8:9] offset:16
	v_mul_u32_u24_sdwa v146, v28, v83 dst_sel:DWORD dst_unused:UNUSED_PAD src0_sel:BYTE_0 src1_sel:DWORD
	s_movk_i32 s10, 0x3abb
	s_movk_i32 s11, 0x36a6
	s_mov_b32 s12, 0xb08e
	s_mov_b32 s13, 0xb93d
	;; [unrolled: 1-line block ×3, first 2 shown]
	v_mul_u32_u24_e32 v103, 0x9a, v103
	s_mov_b32 s22, 0xb853
	s_mov_b32 s18, 0xbb47
	;; [unrolled: 1-line block ×5, first 2 shown]
	s_movk_i32 s25, 0x3482
	s_movk_i32 s19, 0x3beb
	;; [unrolled: 1-line block ×4, first 2 shown]
	s_waitcnt vmcnt(7)
	v_mul_f16_sdwa v85, v62, v0 dst_sel:DWORD dst_unused:UNUSED_PAD src0_sel:DWORD src1_sel:WORD_1
	v_mul_f16_sdwa v88, v66, v1 dst_sel:DWORD dst_unused:UNUSED_PAD src0_sel:DWORD src1_sel:WORD_1
	v_mul_f16_sdwa v105, v63, v2 dst_sel:DWORD dst_unused:UNUSED_PAD src0_sel:DWORD src1_sel:WORD_1
	s_waitcnt vmcnt(6) lgkmcnt(13)
	v_mul_f16_sdwa v151, v82, v4 dst_sel:DWORD dst_unused:UNUSED_PAD src0_sel:DWORD src1_sel:WORD_1
	v_mul_f16_sdwa v152, v64, v4 dst_sel:DWORD dst_unused:UNUSED_PAD src0_sel:DWORD src1_sel:WORD_1
	v_mul_f16_sdwa v153, v73, v5 dst_sel:DWORD dst_unused:UNUSED_PAD src0_sel:DWORD src1_sel:WORD_1
	v_mul_f16_sdwa v154, v61, v5 dst_sel:DWORD dst_unused:UNUSED_PAD src0_sel:DWORD src1_sel:WORD_1
	v_mul_f16_sdwa v83, v78, v0 dst_sel:DWORD dst_unused:UNUSED_PAD src0_sel:DWORD src1_sel:WORD_1
	v_mul_f16_sdwa v87, v81, v1 dst_sel:DWORD dst_unused:UNUSED_PAD src0_sel:DWORD src1_sel:WORD_1
	v_mul_f16_sdwa v91, v80, v2 dst_sel:DWORD dst_unused:UNUSED_PAD src0_sel:DWORD src1_sel:WORD_1
	v_fma_f16 v102, v78, v0, -v85
	v_fma_f16 v94, v81, v1, -v88
	;; [unrolled: 1-line block ×3, first 2 shown]
	v_fma_f16 v78, v64, v4, v151
	v_fma_f16 v80, v82, v4, -v152
	v_fma_f16 v81, v61, v5, v153
	v_fma_f16 v82, v73, v5, -v154
	global_load_dwordx2 v[4:5], v99, s[8:9] offset:32
	s_waitcnt lgkmcnt(9)
	v_mul_f16_sdwa v157, v92, v7 dst_sel:DWORD dst_unused:UNUSED_PAD src0_sel:DWORD src1_sel:WORD_1
	v_mul_f16_sdwa v158, v65, v7 dst_sel:DWORD dst_unused:UNUSED_PAD src0_sel:DWORD src1_sel:WORD_1
	s_waitcnt lgkmcnt(7)
	v_mul_f16_sdwa v155, v86, v6 dst_sel:DWORD dst_unused:UNUSED_PAD src0_sel:DWORD src1_sel:WORD_1
	v_mul_f16_sdwa v156, v69, v6 dst_sel:DWORD dst_unused:UNUSED_PAD src0_sel:DWORD src1_sel:WORD_1
	s_waitcnt vmcnt(6) lgkmcnt(1)
	v_mul_f16_sdwa v159, v100, v144 dst_sel:DWORD dst_unused:UNUSED_PAD src0_sel:DWORD src1_sel:WORD_1
	v_fma_f16 v93, v66, v1, v87
	v_fma_f16 v87, v63, v2, v91
	;; [unrolled: 1-line block ×3, first 2 shown]
	v_fma_f16 v92, v92, v7, -v158
	s_waitcnt vmcnt(5)
	v_mul_f16_sdwa v7, v72, v9 dst_sel:DWORD dst_unused:UNUSED_PAD src0_sel:DWORD src1_sel:WORD_1
	v_mul_f16_sdwa v147, v84, v3 dst_sel:DWORD dst_unused:UNUSED_PAD src0_sel:DWORD src1_sel:WORD_1
	;; [unrolled: 1-line block ×4, first 2 shown]
	v_fma_f16 v85, v69, v6, v155
	v_fma_f16 v86, v86, v6, -v156
	v_fma_f16 v99, v70, v144, v159
	v_lshlrev_b32_e32 v6, 2, v146
	v_fma_f16 v70, v57, v9, v7
	v_mul_f16_sdwa v7, v57, v9 dst_sel:DWORD dst_unused:UNUSED_PAD src0_sel:DWORD src1_sel:WORD_1
	v_fma_f16 v101, v62, v0, v83
	v_fma_f16 v83, v68, v3, v147
	v_fma_f16 v84, v84, v3, -v150
	global_load_dwordx4 v[0:3], v6, s[8:9]
	v_fma_f16 v72, v72, v9, -v7
	v_mul_f16_sdwa v7, v131, v10 dst_sel:DWORD dst_unused:UNUSED_PAD src0_sel:DWORD src1_sel:WORD_1
	v_fma_f16 v64, v52, v10, v7
	v_mul_f16_sdwa v7, v52, v10 dst_sel:DWORD dst_unused:UNUSED_PAD src0_sel:DWORD src1_sel:WORD_1
	v_fma_f16 v66, v131, v10, -v7
	v_mul_f16_sdwa v7, v95, v11 dst_sel:DWORD dst_unused:UNUSED_PAD src0_sel:DWORD src1_sel:WORD_1
	v_fma_f16 v57, v59, v11, v7
	v_mul_f16_sdwa v7, v59, v11 dst_sel:DWORD dst_unused:UNUSED_PAD src0_sel:DWORD src1_sel:WORD_1
	v_fma_f16 v59, v95, v11, -v7
	s_waitcnt vmcnt(5)
	v_mul_f16_sdwa v7, v89, v132 dst_sel:DWORD dst_unused:UNUSED_PAD src0_sel:DWORD src1_sel:WORD_1
	v_mul_f16_sdwa v163, v76, v8 dst_sel:DWORD dst_unused:UNUSED_PAD src0_sel:DWORD src1_sel:WORD_1
	v_fma_f16 v52, v55, v132, v7
	v_mul_f16_sdwa v7, v55, v132 dst_sel:DWORD dst_unused:UNUSED_PAD src0_sel:DWORD src1_sel:WORD_1
	v_mul_f16_sdwa v161, v106, v145 dst_sel:DWORD dst_unused:UNUSED_PAD src0_sel:DWORD src1_sel:WORD_1
	;; [unrolled: 1-line block ×4, first 2 shown]
	v_fma_f16 v73, v60, v8, v163
	v_fma_f16 v60, v89, v132, -v7
	v_mul_f16_sdwa v7, v77, v133 dst_sel:DWORD dst_unused:UNUSED_PAD src0_sel:DWORD src1_sel:WORD_1
	v_fma_f16 v100, v100, v144, -v160
	v_fma_f16 v105, v67, v145, v161
	v_fma_f16 v106, v106, v145, -v162
	global_load_dwordx4 v[144:147], v6, s[8:9] offset:16
	v_fma_f16 v61, v53, v133, v7
	v_mul_f16_sdwa v7, v53, v133 dst_sel:DWORD dst_unused:UNUSED_PAD src0_sel:DWORD src1_sel:WORD_1
	v_fma_f16 v62, v77, v133, -v7
	global_load_dwordx2 v[132:133], v6, s[8:9] offset:32
	v_mul_f16_sdwa v7, v71, v134 dst_sel:DWORD dst_unused:UNUSED_PAD src0_sel:DWORD src1_sel:WORD_1
	v_fma_f16 v69, v58, v134, v7
	v_mul_f16_sdwa v7, v58, v134 dst_sel:DWORD dst_unused:UNUSED_PAD src0_sel:DWORD src1_sel:WORD_1
	v_fma_f16 v71, v71, v134, -v7
	v_mul_f16_sdwa v7, v79, v135 dst_sel:DWORD dst_unused:UNUSED_PAD src0_sel:DWORD src1_sel:WORD_1
	v_fma_f16 v77, v54, v135, v7
	v_mul_f16_sdwa v7, v54, v135 dst_sel:DWORD dst_unused:UNUSED_PAD src0_sel:DWORD src1_sel:WORD_1
	s_waitcnt vmcnt(6)
	v_mul_f16_sdwa v6, v51, v148 dst_sel:DWORD dst_unused:UNUSED_PAD src0_sel:DWORD src1_sel:WORD_1
	v_fma_f16 v79, v79, v135, -v7
	v_mul_f16_sdwa v7, v90, v148 dst_sel:DWORD dst_unused:UNUSED_PAD src0_sel:DWORD src1_sel:WORD_1
	v_fma_f16 v90, v90, v148, -v6
	v_mul_f16_sdwa v6, v97, v149 dst_sel:DWORD dst_unused:UNUSED_PAD src0_sel:DWORD src1_sel:WORD_1
	v_fma_f16 v95, v50, v149, v6
	v_mul_f16_sdwa v6, v50, v149 dst_sel:DWORD dst_unused:UNUSED_PAD src0_sel:DWORD src1_sel:WORD_1
	v_fma_f16 v97, v97, v149, -v6
	s_waitcnt vmcnt(5)
	v_mul_f16_sdwa v6, v129, v136 dst_sel:DWORD dst_unused:UNUSED_PAD src0_sel:DWORD src1_sel:WORD_1
	v_fma_f16 v63, v47, v136, v6
	v_mul_f16_sdwa v6, v47, v136 dst_sel:DWORD dst_unused:UNUSED_PAD src0_sel:DWORD src1_sel:WORD_1
	v_fma_f16 v65, v129, v136, -v6
	v_mul_f16_sdwa v6, v127, v137 dst_sel:DWORD dst_unused:UNUSED_PAD src0_sel:DWORD src1_sel:WORD_1
	v_fma_f16 v55, v45, v137, v6
	v_mul_f16_sdwa v6, v45, v137 dst_sel:DWORD dst_unused:UNUSED_PAD src0_sel:DWORD src1_sel:WORD_1
	v_fma_f16 v58, v127, v137, -v6
	v_mul_f16_sdwa v6, v130, v138 dst_sel:DWORD dst_unused:UNUSED_PAD src0_sel:DWORD src1_sel:WORD_1
	v_fma_f16 v89, v51, v148, v7
	v_fma_f16 v51, v48, v138, v6
	v_mul_f16_sdwa v6, v48, v138 dst_sel:DWORD dst_unused:UNUSED_PAD src0_sel:DWORD src1_sel:WORD_1
	v_fma_f16 v53, v130, v138, -v6
	v_mul_f16_sdwa v6, v128, v139 dst_sel:DWORD dst_unused:UNUSED_PAD src0_sel:DWORD src1_sel:WORD_1
	v_fma_f16 v47, v46, v139, v6
	v_mul_f16_sdwa v6, v46, v139 dst_sel:DWORD dst_unused:UNUSED_PAD src0_sel:DWORD src1_sel:WORD_1
	v_fma_f16 v48, v128, v139, -v6
	s_waitcnt vmcnt(4)
	v_mul_f16_sdwa v6, v124, v140 dst_sel:DWORD dst_unused:UNUSED_PAD src0_sel:DWORD src1_sel:WORD_1
	v_fma_f16 v10, v38, v140, v6
	v_mul_f16_sdwa v6, v38, v140 dst_sel:DWORD dst_unused:UNUSED_PAD src0_sel:DWORD src1_sel:WORD_1
	v_fma_f16 v11, v124, v140, -v6
	v_mul_f16_sdwa v6, v125, v141 dst_sel:DWORD dst_unused:UNUSED_PAD src0_sel:DWORD src1_sel:WORD_1
	v_fma_f16 v45, v49, v141, v6
	v_mul_f16_sdwa v6, v49, v141 dst_sel:DWORD dst_unused:UNUSED_PAD src0_sel:DWORD src1_sel:WORD_1
	v_fma_f16 v46, v125, v141, -v6
	;; [unrolled: 4-line block ×3, first 2 shown]
	s_waitcnt lgkmcnt(0)
	v_mul_f16_sdwa v6, v126, v143 dst_sel:DWORD dst_unused:UNUSED_PAD src0_sel:DWORD src1_sel:WORD_1
	v_fma_f16 v54, v56, v143, v6
	v_mul_f16_sdwa v6, v56, v143 dst_sel:DWORD dst_unused:UNUSED_PAD src0_sel:DWORD src1_sel:WORD_1
	v_fma_f16 v56, v126, v143, -v6
	s_waitcnt vmcnt(3)
	v_mul_f16_sdwa v6, v123, v4 dst_sel:DWORD dst_unused:UNUSED_PAD src0_sel:DWORD src1_sel:WORD_1
	v_fma_f16 v67, v42, v4, v6
	v_mul_f16_sdwa v6, v42, v4 dst_sel:DWORD dst_unused:UNUSED_PAD src0_sel:DWORD src1_sel:WORD_1
	v_fma_f16 v68, v123, v4, -v6
	v_mul_f16_sdwa v4, v75, v5 dst_sel:DWORD dst_unused:UNUSED_PAD src0_sel:DWORD src1_sel:WORD_1
	v_fma_f16 v74, v36, v5, v4
	v_mul_f16_sdwa v4, v36, v5 dst_sel:DWORD dst_unused:UNUSED_PAD src0_sel:DWORD src1_sel:WORD_1
	v_fma_f16 v75, v75, v5, -v4
	s_waitcnt vmcnt(2)
	v_mul_f16_sdwa v4, v113, v0 dst_sel:DWORD dst_unused:UNUSED_PAD src0_sel:DWORD src1_sel:WORD_1
	v_fma_f16 v41, v35, v0, v4
	v_mul_f16_sdwa v4, v35, v0 dst_sel:DWORD dst_unused:UNUSED_PAD src0_sel:DWORD src1_sel:WORD_1
	v_fma_f16 v42, v113, v0, -v4
	v_mul_f16_sdwa v0, v122, v1 dst_sel:DWORD dst_unused:UNUSED_PAD src0_sel:DWORD src1_sel:WORD_1
	v_fma_f16 v36, v111, v1, v0
	v_mul_f16_sdwa v0, v111, v1 dst_sel:DWORD dst_unused:UNUSED_PAD src0_sel:DWORD src1_sel:WORD_1
	v_fma_f16 v38, v122, v1, -v0
	v_mul_f16_sdwa v0, v121, v2 dst_sel:DWORD dst_unused:UNUSED_PAD src0_sel:DWORD src1_sel:WORD_1
	v_fma_f16 v76, v76, v8, -v164
	v_fma_f16 v8, v110, v2, v0
	v_mul_f16_sdwa v0, v110, v2 dst_sel:DWORD dst_unused:UNUSED_PAD src0_sel:DWORD src1_sel:WORD_1
	v_fma_f16 v9, v121, v2, -v0
	v_mul_f16_sdwa v0, v119, v3 dst_sel:DWORD dst_unused:UNUSED_PAD src0_sel:DWORD src1_sel:WORD_1
	v_fma_f16 v4, v108, v3, v0
	v_mul_f16_sdwa v0, v108, v3 dst_sel:DWORD dst_unused:UNUSED_PAD src0_sel:DWORD src1_sel:WORD_1
	v_fma_f16 v5, v119, v3, -v0
	v_add_f16_e32 v108, v101, v105
	v_sub_f16_e32 v130, v72, v90
	s_waitcnt vmcnt(1)
	v_mul_f16_sdwa v6, v117, v146 dst_sel:DWORD dst_unused:UNUSED_PAD src0_sel:DWORD src1_sel:WORD_1
	v_mul_f16_sdwa v0, v118, v144 dst_sel:DWORD dst_unused:UNUSED_PAD src0_sel:DWORD src1_sel:WORD_1
	;; [unrolled: 1-line block ×3, first 2 shown]
	v_fma_f16 v6, v39, v146, v6
	v_mul_f16_sdwa v7, v39, v146 dst_sel:DWORD dst_unused:UNUSED_PAD src0_sel:DWORD src1_sel:WORD_1
	s_waitcnt vmcnt(0)
	v_mul_f16_sdwa v39, v115, v132 dst_sel:DWORD dst_unused:UNUSED_PAD src0_sel:DWORD src1_sel:WORD_1
	v_fma_f16 v0, v43, v144, v0
	v_mul_f16_sdwa v1, v43, v144 dst_sel:DWORD dst_unused:UNUSED_PAD src0_sel:DWORD src1_sel:WORD_1
	v_fma_f16 v2, v109, v145, v2
	v_mul_f16_sdwa v3, v109, v145 dst_sel:DWORD dst_unused:UNUSED_PAD src0_sel:DWORD src1_sel:WORD_1
	v_mul_f16_sdwa v35, v116, v147 dst_sel:DWORD dst_unused:UNUSED_PAD src0_sel:DWORD src1_sel:WORD_1
	v_fma_f16 v39, v40, v132, v39
	v_mul_f16_sdwa v40, v40, v132 dst_sel:DWORD dst_unused:UNUSED_PAD src0_sel:DWORD src1_sel:WORD_1
	v_mul_f16_sdwa v43, v114, v133 dst_sel:DWORD dst_unused:UNUSED_PAD src0_sel:DWORD src1_sel:WORD_1
	v_sub_f16_e32 v109, v102, v106
	v_fma_f16 v3, v120, v145, -v3
	v_fma_f16 v7, v117, v146, -v7
	v_fma_f16 v35, v37, v147, v35
	v_mul_f16_sdwa v37, v37, v147 dst_sel:DWORD dst_unused:UNUSED_PAD src0_sel:DWORD src1_sel:WORD_1
	v_fma_f16 v40, v115, v132, -v40
	v_fma_f16 v43, v44, v133, v43
	v_mul_f16_sdwa v44, v44, v133 dst_sel:DWORD dst_unused:UNUSED_PAD src0_sel:DWORD src1_sel:WORD_1
	v_mul_f16_e32 v110, 0xb853, v109
	v_mul_f16_e32 v113, 0xbb47, v109
	v_mul_f16_e32 v115, 0xbbeb, v109
	v_mul_f16_e32 v117, 0xba0c, v109
	v_mul_f16_e32 v109, 0xb482, v109
	v_sub_f16_e32 v120, v94, v100
	v_fma_f16 v1, v118, v144, -v1
	v_fma_f16 v37, v116, v147, -v37
	;; [unrolled: 1-line block ×3, first 2 shown]
	v_fma_f16 v111, v108, s10, v110
	v_fma_f16 v110, v108, s10, -v110
	v_fma_f16 v114, v108, s11, v113
	v_fma_f16 v113, v108, s11, -v113
	;; [unrolled: 2-line block ×5, first 2 shown]
	v_add_f16_e32 v109, v93, v99
	v_mul_f16_e32 v121, 0xbb47, v120
	v_add_f16_e32 v110, v33, v110
	v_fma_f16 v122, v109, s11, v121
	v_fma_f16 v121, v109, s11, -v121
	v_add_f16_e32 v111, v33, v111
	v_add_f16_e32 v110, v121, v110
	v_mul_f16_e32 v121, 0xba0c, v120
	v_add_f16_e32 v113, v33, v113
	v_add_f16_e32 v111, v122, v111
	v_fma_f16 v122, v109, s13, v121
	v_fma_f16 v121, v109, s13, -v121
	v_add_f16_e32 v114, v33, v114
	v_add_f16_e32 v113, v121, v113
	v_mul_f16_e32 v121, 0x3482, v120
	v_add_f16_e32 v115, v33, v115
	;; [unrolled: 7-line block ×3, first 2 shown]
	v_add_f16_e32 v116, v122, v116
	v_fma_f16 v122, v109, s12, v121
	v_fma_f16 v121, v109, s12, -v121
	v_mul_f16_e32 v120, 0x3853, v120
	v_add_f16_e32 v119, v33, v119
	v_add_f16_e32 v108, v33, v108
	v_add_f16_e32 v117, v121, v117
	v_fma_f16 v121, v109, s10, v120
	v_fma_f16 v109, v109, s10, -v120
	v_sub_f16_e32 v120, v88, v92
	v_add_f16_e32 v118, v33, v118
	v_add_f16_e32 v119, v121, v119
	;; [unrolled: 1-line block ×4, first 2 shown]
	v_mul_f16_e32 v121, 0xbbeb, v120
	v_add_f16_e32 v118, v122, v118
	v_fma_f16 v122, v109, s12, v121
	v_fma_f16 v121, v109, s12, -v121
	v_add_f16_e32 v110, v121, v110
	v_mul_f16_e32 v121, 0x3482, v120
	v_add_f16_e32 v111, v122, v111
	v_fma_f16 v122, v109, s14, v121
	v_fma_f16 v121, v109, s14, -v121
	v_add_f16_e32 v113, v121, v113
	v_mul_f16_e32 v121, 0x3b47, v120
	v_add_f16_e32 v114, v122, v114
	v_fma_f16 v122, v109, s11, v121
	v_fma_f16 v121, v109, s11, -v121
	v_add_f16_e32 v115, v121, v115
	v_mul_f16_e32 v121, 0xb853, v120
	v_add_f16_e32 v116, v122, v116
	v_fma_f16 v122, v109, s10, v121
	v_fma_f16 v121, v109, s10, -v121
	v_mul_f16_e32 v120, 0xba0c, v120
	v_add_f16_e32 v117, v121, v117
	v_fma_f16 v121, v109, s13, v120
	v_fma_f16 v109, v109, s13, -v120
	v_sub_f16_e32 v120, v84, v86
	v_add_f16_e32 v119, v121, v119
	v_add_f16_e32 v108, v109, v108
	v_add_f16_e32 v109, v83, v85
	v_mul_f16_e32 v121, 0xba0c, v120
	v_add_f16_e32 v118, v122, v118
	v_fma_f16 v122, v109, s13, v121
	v_fma_f16 v121, v109, s13, -v121
	v_add_f16_e32 v110, v121, v110
	v_mul_f16_e32 v121, 0x3beb, v120
	v_add_f16_e32 v111, v122, v111
	v_fma_f16 v122, v109, s12, v121
	v_fma_f16 v121, v109, s12, -v121
	v_add_f16_e32 v113, v121, v113
	v_mul_f16_e32 v121, 0xb853, v120
	v_add_f16_e32 v114, v122, v114
	v_fma_f16 v122, v109, s10, v121
	v_fma_f16 v121, v109, s10, -v121
	v_add_f16_e32 v115, v121, v115
	v_mul_f16_e32 v121, 0xb482, v120
	v_add_f16_e32 v116, v122, v116
	v_fma_f16 v122, v109, s14, v121
	v_fma_f16 v121, v109, s14, -v121
	v_mul_f16_e32 v120, 0x3b47, v120
	v_add_f16_e32 v117, v121, v117
	v_fma_f16 v121, v109, s11, v120
	v_fma_f16 v109, v109, s11, -v120
	v_sub_f16_e32 v120, v80, v82
	v_add_f16_e32 v119, v121, v119
	v_add_f16_e32 v108, v109, v108
	v_add_f16_e32 v109, v78, v81
	v_mul_f16_e32 v121, 0xb482, v120
	v_add_f16_e32 v118, v122, v118
	v_fma_f16 v122, v109, s14, v121
	v_fma_f16 v121, v109, s14, -v121
	v_add_f16_e32 v110, v121, v110
	v_mul_f16_e32 v121, 0x3853, v120
	v_add_f16_e32 v111, v122, v111
	v_fma_f16 v122, v109, s10, v121
	v_fma_f16 v121, v109, s10, -v121
	v_add_f16_e32 v113, v121, v113
	v_mul_f16_e32 v121, 0xba0c, v120
	v_add_f16_e32 v114, v122, v114
	v_fma_f16 v122, v109, s13, v121
	v_fma_f16 v121, v109, s13, -v121
	v_add_f16_e32 v115, v121, v115
	v_mul_f16_e32 v121, 0x3b47, v120
	v_add_f16_e32 v116, v122, v116
	v_fma_f16 v122, v109, s11, v121
	v_fma_f16 v121, v109, s11, -v121
	v_mul_f16_e32 v120, 0xbbeb, v120
	v_add_f16_e32 v117, v121, v117
	v_fma_f16 v121, v109, s12, v120
	v_fma_f16 v109, v109, s12, -v120
	v_sub_f16_e32 v120, v76, v97
	v_add_f16_e32 v119, v121, v119
	v_add_f16_e32 v109, v109, v108
	v_add_f16_e32 v108, v73, v95
	v_mul_f16_e32 v121, 0xb853, v120
	v_mul_f16_e32 v123, 0xbb47, v120
	;; [unrolled: 1-line block ×5, first 2 shown]
	v_add_f16_e32 v118, v122, v118
	v_fma_f16 v122, v108, s10, v121
	v_fma_f16 v121, v108, s10, -v121
	v_fma_f16 v124, v108, s11, v123
	v_fma_f16 v123, v108, s11, -v123
	;; [unrolled: 2-line block ×5, first 2 shown]
	v_add_f16_e32 v120, v70, v89
	v_mul_f16_e32 v131, 0xbb47, v130
	v_fma_f16 v132, v120, s11, v131
	v_add_f16_e32 v121, v32, v121
	v_fma_f16 v131, v120, s11, -v131
	v_add_f16_e32 v122, v32, v122
	v_add_f16_e32 v121, v131, v121
	v_mul_f16_e32 v131, 0xba0c, v130
	v_add_f16_e32 v122, v132, v122
	v_fma_f16 v132, v120, s13, v131
	v_add_f16_e32 v123, v32, v123
	v_fma_f16 v131, v120, s13, -v131
	v_add_f16_e32 v124, v32, v124
	v_add_f16_e32 v123, v131, v123
	v_mul_f16_e32 v131, 0x3482, v130
	v_add_f16_e32 v124, v132, v124
	v_fma_f16 v132, v120, s14, v131
	v_add_f16_e32 v125, v32, v125
	v_fma_f16 v131, v120, s14, -v131
	v_add_f16_e32 v126, v32, v126
	v_add_f16_e32 v125, v131, v125
	v_mul_f16_e32 v131, 0x3beb, v130
	v_add_f16_e32 v126, v132, v126
	v_fma_f16 v132, v120, s12, v131
	v_add_f16_e32 v127, v32, v127
	v_fma_f16 v131, v120, s12, -v131
	v_mul_f16_e32 v130, 0x3853, v130
	v_add_f16_e32 v127, v131, v127
	v_add_f16_e32 v129, v32, v129
	v_fma_f16 v131, v120, s10, v130
	v_add_f16_e32 v108, v32, v108
	v_fma_f16 v120, v120, s10, -v130
	v_sub_f16_e32 v130, v66, v79
	v_add_f16_e32 v128, v32, v128
	v_add_f16_e32 v129, v131, v129
	;; [unrolled: 1-line block ×4, first 2 shown]
	v_mul_f16_e32 v131, 0xbbeb, v130
	v_add_f16_e32 v128, v132, v128
	v_fma_f16 v132, v120, s12, v131
	v_fma_f16 v131, v120, s12, -v131
	v_add_f16_e32 v121, v131, v121
	v_mul_f16_e32 v131, 0x3482, v130
	v_add_f16_e32 v122, v132, v122
	v_fma_f16 v132, v120, s14, v131
	v_fma_f16 v131, v120, s14, -v131
	v_add_f16_e32 v123, v131, v123
	v_mul_f16_e32 v131, 0x3b47, v130
	v_add_f16_e32 v124, v132, v124
	v_fma_f16 v132, v120, s11, v131
	v_fma_f16 v131, v120, s11, -v131
	v_add_f16_e32 v125, v131, v125
	v_mul_f16_e32 v131, 0xb853, v130
	v_add_f16_e32 v126, v132, v126
	v_fma_f16 v132, v120, s10, v131
	v_fma_f16 v131, v120, s10, -v131
	v_mul_f16_e32 v130, 0xba0c, v130
	v_add_f16_e32 v127, v131, v127
	v_fma_f16 v131, v120, s13, v130
	v_fma_f16 v120, v120, s13, -v130
	v_sub_f16_e32 v130, v59, v71
	v_add_f16_e32 v129, v131, v129
	v_add_f16_e32 v108, v120, v108
	v_add_f16_e32 v120, v57, v69
	v_mul_f16_e32 v131, 0xba0c, v130
	v_add_f16_e32 v128, v132, v128
	v_fma_f16 v132, v120, s13, v131
	v_fma_f16 v131, v120, s13, -v131
	v_add_f16_e32 v121, v131, v121
	v_mul_f16_e32 v131, 0x3beb, v130
	v_add_f16_e32 v122, v132, v122
	v_fma_f16 v132, v120, s12, v131
	v_fma_f16 v131, v120, s12, -v131
	v_add_f16_e32 v123, v131, v123
	v_mul_f16_e32 v131, 0xb853, v130
	v_add_f16_e32 v124, v132, v124
	v_fma_f16 v132, v120, s10, v131
	v_fma_f16 v131, v120, s10, -v131
	v_add_f16_e32 v125, v131, v125
	v_mul_f16_e32 v131, 0xb482, v130
	v_add_f16_e32 v126, v132, v126
	v_fma_f16 v132, v120, s14, v131
	v_fma_f16 v131, v120, s14, -v131
	v_mul_f16_e32 v130, 0x3b47, v130
	v_add_f16_e32 v127, v131, v127
	v_fma_f16 v131, v120, s11, v130
	v_fma_f16 v120, v120, s11, -v130
	v_sub_f16_e32 v130, v60, v62
	v_add_f16_e32 v129, v131, v129
	v_add_f16_e32 v108, v120, v108
	v_add_f16_e32 v120, v52, v61
	;; [unrolled: 27-line block ×3, first 2 shown]
	v_mul_f16_e32 v131, 0xb853, v130
	v_add_f16_e32 v128, v132, v128
	v_fma_f16 v132, v108, s10, v131
	v_mul_f16_e32 v133, 0xbb47, v130
	v_mul_f16_e32 v135, 0xbbeb, v130
	;; [unrolled: 1-line block ×4, first 2 shown]
	v_sub_f16_e32 v140, v58, v68
	v_fma_f16 v131, v108, s10, -v131
	v_fma_f16 v134, v108, s11, v133
	v_fma_f16 v133, v108, s11, -v133
	v_fma_f16 v136, v108, s12, v135
	;; [unrolled: 2-line block ×4, first 2 shown]
	v_fma_f16 v108, v108, s14, -v130
	v_add_f16_e32 v130, v30, v132
	v_add_f16_e32 v132, v55, v67
	v_mul_f16_e32 v141, 0xbb47, v140
	v_fma_f16 v142, v132, s11, v141
	v_add_f16_e32 v131, v30, v131
	v_fma_f16 v141, v132, s11, -v141
	v_add_f16_e32 v131, v141, v131
	v_mul_f16_e32 v141, 0xba0c, v140
	v_add_f16_e32 v130, v142, v130
	v_fma_f16 v142, v132, s13, v141
	v_add_f16_e32 v133, v30, v133
	v_fma_f16 v141, v132, s13, -v141
	v_add_f16_e32 v134, v30, v134
	v_add_f16_e32 v133, v141, v133
	v_mul_f16_e32 v141, 0x3482, v140
	v_add_f16_e32 v134, v142, v134
	v_fma_f16 v142, v132, s14, v141
	v_add_f16_e32 v135, v30, v135
	v_fma_f16 v141, v132, s14, -v141
	v_add_f16_e32 v136, v30, v136
	v_add_f16_e32 v135, v141, v135
	v_mul_f16_e32 v141, 0x3beb, v140
	v_add_f16_e32 v136, v142, v136
	v_fma_f16 v142, v132, s12, v141
	v_add_f16_e32 v137, v30, v137
	v_fma_f16 v141, v132, s12, -v141
	v_mul_f16_e32 v140, 0x3853, v140
	v_add_f16_e32 v137, v141, v137
	v_add_f16_e32 v139, v30, v139
	v_fma_f16 v141, v132, s10, v140
	v_fma_f16 v132, v132, s10, -v140
	v_add_f16_e32 v108, v30, v108
	v_sub_f16_e32 v140, v53, v56
	v_add_f16_e32 v138, v30, v138
	v_add_f16_e32 v139, v141, v139
	;; [unrolled: 1-line block ×4, first 2 shown]
	v_mul_f16_e32 v141, 0xbbeb, v140
	v_add_f16_e32 v138, v142, v138
	v_fma_f16 v142, v132, s12, v141
	v_fma_f16 v141, v132, s12, -v141
	v_add_f16_e32 v131, v141, v131
	v_mul_f16_e32 v141, 0x3482, v140
	v_add_f16_e32 v130, v142, v130
	v_fma_f16 v142, v132, s14, v141
	v_fma_f16 v141, v132, s14, -v141
	v_add_f16_e32 v133, v141, v133
	;; [unrolled: 5-line block ×3, first 2 shown]
	v_mul_f16_e32 v141, 0xb853, v140
	v_add_f16_e32 v136, v142, v136
	v_fma_f16 v142, v132, s10, v141
	v_fma_f16 v141, v132, s10, -v141
	v_mul_f16_e32 v140, 0xba0c, v140
	v_add_f16_e32 v137, v141, v137
	v_fma_f16 v141, v132, s13, v140
	v_fma_f16 v132, v132, s13, -v140
	v_sub_f16_e32 v140, v48, v50
	v_add_f16_e32 v139, v141, v139
	v_add_f16_e32 v108, v132, v108
	;; [unrolled: 1-line block ×3, first 2 shown]
	v_mul_f16_e32 v141, 0xba0c, v140
	v_add_f16_e32 v138, v142, v138
	v_fma_f16 v142, v132, s13, v141
	v_fma_f16 v141, v132, s13, -v141
	v_add_f16_e32 v131, v141, v131
	v_mul_f16_e32 v141, 0x3beb, v140
	v_add_f16_e32 v130, v142, v130
	v_fma_f16 v142, v132, s12, v141
	v_fma_f16 v141, v132, s12, -v141
	v_add_f16_e32 v133, v141, v133
	;; [unrolled: 5-line block ×3, first 2 shown]
	v_mul_f16_e32 v141, 0xb482, v140
	v_add_f16_e32 v136, v142, v136
	v_fma_f16 v142, v132, s14, v141
	v_fma_f16 v141, v132, s14, -v141
	v_mul_f16_e32 v140, 0x3b47, v140
	v_add_f16_e32 v137, v141, v137
	v_fma_f16 v141, v132, s11, v140
	v_fma_f16 v132, v132, s11, -v140
	v_sub_f16_e32 v140, v11, v46
	v_add_f16_e32 v139, v141, v139
	v_add_f16_e32 v108, v132, v108
	;; [unrolled: 1-line block ×3, first 2 shown]
	v_mul_f16_e32 v141, 0xb482, v140
	v_add_f16_e32 v138, v142, v138
	v_fma_f16 v142, v132, s14, v141
	v_fma_f16 v141, v132, s14, -v141
	v_add_f16_e32 v131, v141, v131
	v_mul_f16_e32 v141, 0x3853, v140
	v_add_f16_e32 v33, v33, v101
	v_add_f16_e32 v130, v142, v130
	v_fma_f16 v142, v132, s10, v141
	v_fma_f16 v141, v132, s10, -v141
	v_add_f16_e32 v33, v33, v93
	v_add_f16_e32 v133, v141, v133
	v_mul_f16_e32 v141, 0xba0c, v140
	v_add_f16_e32 v33, v33, v87
	v_add_f16_e32 v32, v32, v73
	;; [unrolled: 1-line block ×3, first 2 shown]
	v_fma_f16 v142, v132, s13, v141
	v_fma_f16 v141, v132, s13, -v141
	v_add_f16_e32 v33, v33, v83
	v_add_f16_e32 v32, v32, v70
	;; [unrolled: 1-line block ×3, first 2 shown]
	v_mul_f16_e32 v141, 0x3b47, v140
	v_add_f16_e32 v33, v33, v78
	v_add_f16_e32 v32, v32, v64
	;; [unrolled: 1-line block ×4, first 2 shown]
	v_fma_f16 v142, v132, s11, v141
	v_fma_f16 v141, v132, s11, -v141
	v_mul_f16_e32 v140, 0xbbeb, v140
	v_add_f16_e32 v33, v33, v81
	v_add_f16_e32 v32, v32, v57
	;; [unrolled: 1-line block ×4, first 2 shown]
	v_fma_f16 v141, v132, s12, v140
	v_fma_f16 v132, v132, s12, -v140
	v_add_f16_e32 v33, v33, v85
	v_add_f16_e32 v32, v32, v52
	;; [unrolled: 1-line block ×4, first 2 shown]
	v_mov_b32_e32 v108, 1
	v_add_f16_e32 v33, v33, v91
	v_add_f16_e32 v32, v32, v61
	;; [unrolled: 1-line block ×3, first 2 shown]
	v_lshlrev_b32_sdwa v104, v108, v104 dst_sel:DWORD dst_unused:UNUSED_PAD src0_sel:DWORD src1_sel:BYTE_0
	v_add_f16_e32 v33, v33, v99
	v_add_f16_e32 v32, v32, v69
	;; [unrolled: 1-line block ×3, first 2 shown]
	v_add3_u32 v103, 0, v103, v104
	v_add_f16_e32 v33, v33, v105
	v_add_f16_e32 v32, v32, v77
	v_add_f16_e32 v30, v30, v45
	s_waitcnt lgkmcnt(0)
	; wave barrier
	ds_write_b16 v103, v33
	ds_write_b16 v103, v111 offset:14
	ds_write_b16 v103, v114 offset:28
	;; [unrolled: 1-line block ×7, first 2 shown]
	v_add_f16_e32 v32, v32, v89
	v_add_f16_e32 v30, v30, v49
	v_mul_u32_u24_e32 v33, 0x9a, v96
	v_lshlrev_b32_sdwa v96, v108, v98 dst_sel:DWORD dst_unused:UNUSED_PAD src0_sel:DWORD src1_sel:BYTE_0
	v_add_f16_e32 v32, v32, v95
	v_add_f16_e32 v30, v30, v54
	v_add3_u32 v33, 0, v33, v96
	v_add_f16_e32 v30, v30, v67
	ds_write_b16 v103, v115 offset:112
	ds_write_b16 v103, v113 offset:126
	;; [unrolled: 1-line block ×3, first 2 shown]
	ds_write_b16 v33, v32
	ds_write_b16 v33, v122 offset:14
	ds_write_b16 v33, v124 offset:28
	ds_write_b16 v33, v126 offset:42
	ds_write_b16 v33, v128 offset:56
	ds_write_b16 v33, v129 offset:70
	ds_write_b16 v33, v120 offset:84
	ds_write_b16 v33, v127 offset:98
	ds_write_b16 v33, v125 offset:112
	ds_write_b16 v33, v123 offset:126
	ds_write_b16 v33, v121 offset:140
	v_mul_u32_u24_e32 v32, 0x9a, v107
	v_lshlrev_b32_sdwa v96, v108, v112 dst_sel:DWORD dst_unused:UNUSED_PAD src0_sel:DWORD src1_sel:BYTE_0
	v_add_f16_e32 v30, v30, v74
	v_add3_u32 v96, 0, v32, v96
	v_add_f16_e32 v138, v142, v138
	v_add_f16_e32 v139, v141, v139
	ds_write_b16 v96, v30
	ds_write_b16 v96, v130 offset:14
	ds_write_b16 v96, v134 offset:28
	;; [unrolled: 1-line block ×10, first 2 shown]
	s_and_saveexec_b64 s[4:5], s[0:1]
	s_cbranch_execz .LBB0_19
; %bb.18:
	v_sub_f16_e32 v98, v42, v44
	v_add_f16_e32 v32, v41, v43
	v_mul_f16_e32 v104, 0xb482, v98
	v_sub_f16_e32 v110, v38, v40
	v_fma_f16 v107, v32, s14, -v104
	v_add_f16_e32 v109, v36, v39
	v_mul_f16_e32 v111, 0x3853, v110
	v_add_f16_e32 v107, v27, v107
	v_fma_f16 v112, v109, s10, -v111
	v_sub_f16_e32 v113, v9, v37
	v_add_f16_e32 v107, v112, v107
	v_add_f16_e32 v112, v8, v35
	v_mul_f16_e32 v114, 0xba0c, v113
	v_fma_f16 v115, v112, s13, -v114
	v_sub_f16_e32 v116, v5, v7
	v_fma_f16 v104, v32, s14, v104
	v_add_f16_e32 v107, v115, v107
	v_add_f16_e32 v115, v4, v6
	v_mul_f16_e32 v117, 0x3b47, v116
	v_add_f16_e32 v104, v27, v104
	v_fma_f16 v111, v109, s10, v111
	v_fma_f16 v118, v115, s11, -v117
	v_sub_f16_e32 v119, v1, v3
	v_add_f16_e32 v104, v111, v104
	v_fma_f16 v111, v112, s13, v114
	v_add_f16_e32 v107, v118, v107
	v_add_f16_e32 v118, v0, v2
	v_mul_f16_e32 v120, 0xbbeb, v119
	v_add_f16_e32 v104, v111, v104
	v_fma_f16 v111, v115, s11, v117
	v_add_f16_e32 v104, v111, v104
	v_fma_f16 v111, v118, s12, v120
	v_add_f16_e32 v104, v111, v104
	v_mul_f16_e32 v111, 0xba0c, v98
	v_fma_f16 v114, v32, s13, -v111
	v_mul_f16_e32 v117, 0x3beb, v110
	v_fma_f16 v121, v118, s12, -v120
	v_add_f16_e32 v114, v27, v114
	v_fma_f16 v120, v109, s12, -v117
	v_add_f16_e32 v114, v120, v114
	v_mul_f16_e32 v120, 0xb853, v113
	v_add_f16_e32 v107, v121, v107
	v_fma_f16 v121, v112, s10, -v120
	v_fma_f16 v111, v32, s13, v111
	v_add_f16_e32 v114, v121, v114
	v_mul_f16_e32 v121, 0xb482, v116
	v_add_f16_e32 v111, v27, v111
	v_fma_f16 v117, v109, s12, v117
	v_fma_f16 v122, v115, s14, -v121
	v_add_f16_e32 v111, v117, v111
	v_fma_f16 v117, v112, s10, v120
	v_add_f16_e32 v114, v122, v114
	v_mul_f16_e32 v122, 0x3b47, v119
	v_add_f16_e32 v111, v117, v111
	v_fma_f16 v117, v115, s14, v121
	v_add_f16_e32 v111, v117, v111
	v_fma_f16 v117, v118, s11, v122
	v_add_f16_e32 v111, v117, v111
	v_mul_f16_e32 v117, 0xbbeb, v98
	v_fma_f16 v120, v32, s12, -v117
	v_mul_f16_e32 v121, 0x3482, v110
	v_fma_f16 v123, v118, s11, -v122
	v_add_f16_e32 v120, v27, v120
	v_fma_f16 v122, v109, s14, -v121
	v_add_f16_e32 v120, v122, v120
	v_mul_f16_e32 v122, 0x3b47, v113
	v_add_f16_e32 v114, v123, v114
	v_fma_f16 v123, v112, s11, -v122
	v_fma_f16 v117, v32, s12, v117
	v_add_f16_e32 v120, v123, v120
	v_mul_f16_e32 v123, 0xb853, v116
	v_add_f16_e32 v117, v27, v117
	v_fma_f16 v121, v109, s14, v121
	v_fma_f16 v124, v115, s10, -v123
	v_add_f16_e32 v117, v121, v117
	v_fma_f16 v121, v112, s11, v122
	v_add_f16_e32 v120, v124, v120
	v_mul_f16_e32 v124, 0xba0c, v119
	v_add_f16_e32 v117, v121, v117
	v_fma_f16 v121, v115, s10, v123
	v_add_f16_e32 v117, v121, v117
	v_fma_f16 v121, v118, s13, v124
	v_add_f16_e32 v117, v121, v117
	v_mul_f16_e32 v121, 0xbb47, v98
	v_fma_f16 v122, v32, s11, -v121
	v_mul_f16_e32 v123, 0xba0c, v110
	v_fma_f16 v125, v118, s13, -v124
	v_add_f16_e32 v122, v27, v122
	v_fma_f16 v124, v109, s13, -v123
	v_add_f16_e32 v122, v124, v122
	v_mul_f16_e32 v124, 0x3482, v113
	v_add_f16_e32 v120, v125, v120
	v_fma_f16 v125, v112, s14, -v124
	v_fma_f16 v121, v32, s11, v121
	v_add_f16_e32 v122, v125, v122
	v_mul_f16_e32 v125, 0x3beb, v116
	v_add_f16_e32 v121, v27, v121
	v_fma_f16 v123, v109, s13, v123
	v_add_f16_e32 v30, v27, v41
	v_fma_f16 v126, v115, s12, -v125
	v_add_f16_e32 v121, v123, v121
	v_fma_f16 v123, v112, s14, v124
	v_add_f16_e32 v30, v30, v36
	v_add_f16_e32 v122, v126, v122
	v_mul_f16_e32 v126, 0x3853, v119
	v_add_f16_e32 v121, v123, v121
	v_fma_f16 v123, v115, s12, v125
	v_add_f16_e32 v30, v30, v8
	v_add_f16_e32 v121, v123, v121
	v_fma_f16 v123, v118, s10, v126
	v_mul_f16_e32 v98, 0xb853, v98
	v_add_f16_e32 v30, v30, v4
	v_add_f16_e32 v121, v123, v121
	v_fma_f16 v123, v32, s10, -v98
	v_mul_f16_e32 v110, 0xbb47, v110
	v_fma_f16 v32, v32, s10, v98
	v_add_f16_e32 v30, v30, v0
	v_add_f16_e32 v123, v27, v123
	v_mul_f16_e32 v113, 0xbbeb, v113
	v_add_f16_e32 v27, v27, v32
	v_fma_f16 v32, v109, s11, v110
	v_add_f16_e32 v30, v30, v2
	v_mul_f16_e32 v116, 0xba0c, v116
	v_add_f16_e32 v27, v32, v27
	v_fma_f16 v32, v112, s12, v113
	v_add_f16_e32 v30, v30, v6
	v_fma_f16 v124, v109, s11, -v110
	v_mul_f16_e32 v119, 0xb482, v119
	v_add_f16_e32 v27, v32, v27
	v_fma_f16 v32, v115, s13, v116
	v_add_f16_e32 v30, v30, v35
	v_add_f16_e32 v123, v124, v123
	v_fma_f16 v124, v112, s12, -v113
	v_add_f16_e32 v27, v32, v27
	v_fma_f16 v32, v118, s14, v119
	v_add_f16_e32 v30, v30, v39
	v_add_f16_e32 v123, v124, v123
	v_fma_f16 v124, v115, s13, -v116
	v_add_f16_e32 v27, v32, v27
	v_mul_u32_u24_e32 v32, 0x9a, v26
	v_lshlrev_b32_sdwa v98, v108, v28 dst_sel:DWORD dst_unused:UNUSED_PAD src0_sel:DWORD src1_sel:BYTE_0
	v_add_f16_e32 v30, v30, v43
	v_fma_f16 v127, v118, s10, -v126
	v_add_f16_e32 v123, v124, v123
	v_fma_f16 v124, v118, s14, -v119
	v_add3_u32 v32, 0, v32, v98
	v_add_f16_e32 v122, v127, v122
	v_add_f16_e32 v123, v124, v123
	ds_write_b16 v32, v30
	ds_write_b16 v32, v27 offset:14
	ds_write_b16 v32, v121 offset:28
	;; [unrolled: 1-line block ×10, first 2 shown]
.LBB0_19:
	s_or_b64 exec, exec, s[4:5]
	v_add_f16_e32 v27, v34, v102
	v_add_f16_e32 v27, v27, v94
	v_add_f16_e32 v27, v27, v88
	v_add_f16_e32 v27, v27, v84
	v_add_f16_e32 v27, v27, v80
	v_add_f16_e32 v27, v27, v82
	v_add_f16_e32 v27, v27, v86
	v_add_f16_e32 v27, v27, v92
	v_add_f16_e32 v27, v27, v100
	v_add_f16_e32 v98, v27, v106
	v_add_f16_e32 v27, v102, v106
	v_sub_f16_e32 v30, v101, v105
	v_mul_f16_e32 v32, 0x3abb, v27
	v_mul_f16_e32 v102, 0x36a6, v27
	;; [unrolled: 1-line block ×4, first 2 shown]
	s_movk_i32 s10, 0x3a0c
	v_mul_f16_e32 v27, 0xbbad, v27
	v_fma_f16 v101, v30, s23, v32
	v_fma_f16 v32, v30, s22, v32
	;; [unrolled: 1-line block ×10, first 2 shown]
	v_add_f16_e32 v30, v94, v100
	v_add_f16_e32 v101, v34, v101
	;; [unrolled: 1-line block ×11, first 2 shown]
	v_sub_f16_e32 v34, v93, v99
	v_mul_f16_e32 v93, 0x36a6, v30
	v_fma_f16 v94, v34, s21, v93
	v_fma_f16 v93, v34, s18, v93
	v_add_f16_e32 v32, v93, v32
	v_mul_f16_e32 v93, 0xb93d, v30
	v_fma_f16 v99, v34, s10, v93
	v_fma_f16 v93, v34, s20, v93
	v_mul_f16_e32 v100, 0xbbad, v30
	v_add_f16_e32 v94, v94, v101
	v_add_f16_e32 v93, v93, v102
	v_fma_f16 v101, v34, s24, v100
	v_fma_f16 v100, v34, s25, v100
	v_mul_f16_e32 v102, 0xb08e, v30
	v_mul_f16_e32 v30, 0x3abb, v30
	v_add_f16_e32 v100, v100, v105
	v_fma_f16 v105, v34, s22, v30
	v_fma_f16 v30, v34, s23, v30
	v_add_f16_e32 v27, v30, v27
	v_add_f16_e32 v30, v88, v92
	v_add_f16_e32 v99, v99, v104
	v_fma_f16 v104, v34, s15, v102
	v_fma_f16 v102, v34, s19, v102
	v_sub_f16_e32 v34, v87, v91
	v_mul_f16_e32 v87, 0xb08e, v30
	v_fma_f16 v88, v34, s19, v87
	v_fma_f16 v87, v34, s15, v87
	v_add_f16_e32 v32, v87, v32
	v_mul_f16_e32 v87, 0xbbad, v30
	v_fma_f16 v91, v34, s24, v87
	v_fma_f16 v87, v34, s25, v87
	v_mul_f16_e32 v92, 0x36a6, v30
	v_add_f16_e32 v88, v88, v94
	v_add_f16_e32 v87, v87, v93
	v_fma_f16 v93, v34, s18, v92
	v_fma_f16 v92, v34, s21, v92
	v_mul_f16_e32 v94, 0x3abb, v30
	v_mul_f16_e32 v30, 0xb93d, v30
	v_add_f16_e32 v92, v92, v100
	v_fma_f16 v100, v34, s10, v30
	v_fma_f16 v30, v34, s20, v30
	v_add_f16_e32 v27, v30, v27
	v_add_f16_e32 v30, v84, v86
	v_add_f16_e32 v91, v91, v99
	v_fma_f16 v99, v34, s23, v94
	v_fma_f16 v94, v34, s22, v94
	;; [unrolled: 23-line block ×3, first 2 shown]
	v_sub_f16_e32 v34, v78, v81
	v_mul_f16_e32 v78, 0xbbad, v30
	v_fma_f16 v80, v34, s25, v78
	v_fma_f16 v78, v34, s24, v78
	v_add_f16_e32 v78, v78, v32
	v_mul_f16_e32 v32, 0x3abb, v30
	v_fma_f16 v81, v34, s22, v32
	v_fma_f16 v32, v34, s23, v32
	v_add_f16_e32 v82, v32, v83
	v_mul_f16_e32 v32, 0xb93d, v30
	v_add_f16_e32 v102, v102, v107
	v_fma_f16 v83, v34, s10, v32
	v_fma_f16 v32, v34, s20, v32
	v_add_f16_e32 v94, v94, v102
	v_add_f16_e32 v80, v80, v84
	;; [unrolled: 1-line block ×3, first 2 shown]
	v_mul_f16_e32 v32, 0x36a6, v30
	v_add_f16_e32 v88, v88, v94
	v_add_f16_e32 v81, v81, v85
	v_fma_f16 v85, v34, s18, v32
	v_fma_f16 v32, v34, s21, v32
	v_mul_f16_e32 v30, 0xb08e, v30
	v_add_f16_e32 v86, v32, v88
	v_fma_f16 v32, v34, s19, v30
	v_fma_f16 v30, v34, s15, v30
	v_add_f16_e32 v88, v30, v27
	v_add_f16_e32 v27, v31, v76
	;; [unrolled: 1-line block ×24, first 2 shown]
	v_sub_f16_e32 v30, v73, v95
	v_mul_f16_e32 v32, 0x3abb, v27
	v_mul_f16_e32 v73, 0x36a6, v27
	;; [unrolled: 1-line block ×5, first 2 shown]
	v_fma_f16 v34, v30, s23, v32
	v_fma_f16 v32, v30, s22, v32
	;; [unrolled: 1-line block ×10, first 2 shown]
	v_add_f16_e32 v30, v72, v90
	v_add_f16_e32 v34, v31, v34
	;; [unrolled: 1-line block ×11, first 2 shown]
	v_sub_f16_e32 v31, v70, v89
	v_mul_f16_e32 v70, 0x36a6, v30
	v_fma_f16 v72, v31, s21, v70
	v_fma_f16 v70, v31, s18, v70
	v_add_f16_e32 v32, v70, v32
	v_mul_f16_e32 v70, 0xb93d, v30
	v_add_f16_e32 v34, v72, v34
	v_fma_f16 v72, v31, s10, v70
	v_fma_f16 v70, v31, s20, v70
	v_add_f16_e32 v70, v70, v73
	v_mul_f16_e32 v73, 0xbbad, v30
	v_add_f16_e32 v72, v72, v76
	v_fma_f16 v76, v31, s24, v73
	v_fma_f16 v73, v31, s25, v73
	v_mul_f16_e32 v89, 0xb08e, v30
	v_mul_f16_e32 v30, 0x3abb, v30
	v_add_f16_e32 v73, v73, v92
	v_fma_f16 v92, v31, s22, v30
	v_fma_f16 v30, v31, s23, v30
	v_add_f16_e32 v27, v30, v27
	v_add_f16_e32 v30, v66, v79
	v_fma_f16 v90, v31, s15, v89
	v_fma_f16 v89, v31, s19, v89
	v_sub_f16_e32 v31, v64, v77
	v_mul_f16_e32 v64, 0xb08e, v30
	v_fma_f16 v66, v31, s19, v64
	v_fma_f16 v64, v31, s15, v64
	v_add_f16_e32 v32, v64, v32
	v_mul_f16_e32 v64, 0xbbad, v30
	v_add_f16_e32 v34, v66, v34
	v_fma_f16 v66, v31, s24, v64
	v_fma_f16 v64, v31, s25, v64
	v_add_f16_e32 v64, v64, v70
	v_mul_f16_e32 v70, 0x36a6, v30
	v_add_f16_e32 v66, v66, v72
	v_fma_f16 v72, v31, s18, v70
	v_fma_f16 v70, v31, s21, v70
	v_add_f16_e32 v70, v70, v73
	v_mul_f16_e32 v73, 0x3abb, v30
	v_mul_f16_e32 v30, 0xb93d, v30
	v_fma_f16 v77, v31, s10, v30
	v_fma_f16 v30, v31, s20, v30
	v_add_f16_e32 v76, v76, v93
	v_add_f16_e32 v27, v30, v27
	;; [unrolled: 1-line block ×4, first 2 shown]
	v_fma_f16 v76, v31, s23, v73
	v_fma_f16 v73, v31, s22, v73
	v_sub_f16_e32 v31, v57, v69
	v_mul_f16_e32 v57, 0xb93d, v30
	v_fma_f16 v59, v31, s10, v57
	v_fma_f16 v57, v31, s20, v57
	v_add_f16_e32 v32, v57, v32
	v_mul_f16_e32 v57, 0xb08e, v30
	v_add_f16_e32 v34, v59, v34
	v_fma_f16 v59, v31, s15, v57
	v_fma_f16 v57, v31, s19, v57
	v_add_f16_e32 v57, v57, v64
	v_mul_f16_e32 v64, 0x3abb, v30
	v_mul_f16_e32 v69, 0xbbad, v30
	;; [unrolled: 1-line block ×3, first 2 shown]
	v_fma_f16 v71, v31, s18, v30
	v_fma_f16 v30, v31, s21, v30
	v_add_f16_e32 v59, v59, v66
	v_fma_f16 v66, v31, s23, v64
	v_fma_f16 v64, v31, s22, v64
	v_add_f16_e32 v27, v30, v27
	v_add_f16_e32 v30, v60, v62
	v_add_f16_e32 v90, v90, v95
	v_add_f16_e32 v64, v64, v70
	v_fma_f16 v70, v31, s25, v69
	v_fma_f16 v69, v31, s24, v69
	v_sub_f16_e32 v31, v52, v61
	v_mul_f16_e32 v52, 0xbbad, v30
	v_add_f16_e32 v92, v92, v97
	v_add_f16_e32 v76, v76, v90
	v_fma_f16 v60, v31, s25, v52
	v_add_f16_e32 v77, v77, v92
	v_add_f16_e32 v70, v70, v76
	;; [unrolled: 1-line block ×3, first 2 shown]
	v_fma_f16 v34, v31, s24, v52
	v_add_f16_e32 v71, v71, v77
	v_add_f16_e32 v77, v34, v32
	v_mul_f16_e32 v32, 0x3abb, v30
	v_add_f16_e32 v89, v89, v94
	v_fma_f16 v34, v31, s22, v32
	v_fma_f16 v32, v31, s23, v32
	v_add_f16_e32 v73, v73, v89
	v_add_f16_e32 v89, v32, v57
	v_mul_f16_e32 v32, 0xb93d, v30
	v_add_f16_e32 v79, v34, v59
	v_fma_f16 v34, v31, s10, v32
	v_fma_f16 v32, v31, s20, v32
	v_add_f16_e32 v66, v66, v72
	v_add_f16_e32 v92, v32, v64
	v_mul_f16_e32 v32, 0x36a6, v30
	v_add_f16_e32 v69, v69, v73
	v_add_f16_e32 v90, v34, v66
	v_fma_f16 v34, v31, s18, v32
	v_fma_f16 v32, v31, s21, v32
	v_mul_f16_e32 v30, 0xb08e, v30
	v_add_f16_e32 v94, v32, v69
	v_fma_f16 v32, v31, s19, v30
	v_fma_f16 v30, v31, s15, v30
	v_add_f16_e32 v97, v30, v27
	v_add_f16_e32 v27, v29, v65
	;; [unrolled: 1-line block ×13, first 2 shown]
	v_sub_f16_e32 v30, v63, v74
	v_mul_f16_e32 v31, 0x3abb, v27
	v_mul_f16_e32 v34, 0x36a6, v27
	;; [unrolled: 1-line block ×5, first 2 shown]
	v_add_f16_e32 v95, v32, v71
	v_fma_f16 v32, v30, s23, v31
	v_fma_f16 v31, v30, s22, v31
	;; [unrolled: 1-line block ×10, first 2 shown]
	v_add_f16_e32 v32, v29, v32
	v_add_f16_e32 v31, v29, v31
	;; [unrolled: 1-line block ×11, first 2 shown]
	v_sub_f16_e32 v30, v55, v67
	v_mul_f16_e32 v55, 0x36a6, v29
	v_fma_f16 v58, v30, s21, v55
	v_fma_f16 v55, v30, s18, v55
	v_add_f16_e32 v31, v55, v31
	v_mul_f16_e32 v55, 0xb93d, v29
	v_add_f16_e32 v32, v58, v32
	v_fma_f16 v58, v30, s10, v55
	v_fma_f16 v55, v30, s20, v55
	v_add_f16_e32 v34, v55, v34
	v_mul_f16_e32 v55, 0xbbad, v29
	v_add_f16_e32 v52, v58, v52
	;; [unrolled: 5-line block ×3, first 2 shown]
	v_fma_f16 v59, v30, s15, v57
	v_fma_f16 v57, v30, s19, v57
	v_mul_f16_e32 v29, 0x3abb, v29
	v_add_f16_e32 v57, v57, v60
	v_fma_f16 v60, v30, s22, v29
	v_fma_f16 v29, v30, s23, v29
	v_add_f16_e32 v27, v29, v27
	v_add_f16_e32 v29, v53, v56
	v_sub_f16_e32 v30, v51, v54
	v_mul_f16_e32 v51, 0xb08e, v29
	v_fma_f16 v53, v30, s19, v51
	v_fma_f16 v51, v30, s15, v51
	v_add_f16_e32 v31, v51, v31
	v_mul_f16_e32 v51, 0xbbad, v29
	v_add_f16_e32 v32, v53, v32
	v_fma_f16 v53, v30, s24, v51
	v_fma_f16 v51, v30, s25, v51
	v_add_f16_e32 v34, v51, v34
	v_mul_f16_e32 v51, 0x36a6, v29
	v_mul_f16_e32 v54, 0x3abb, v29
	;; [unrolled: 1-line block ×3, first 2 shown]
	v_fma_f16 v56, v30, s10, v29
	v_fma_f16 v29, v30, s20, v29
	v_add_f16_e32 v52, v53, v52
	v_fma_f16 v53, v30, s18, v51
	v_fma_f16 v51, v30, s21, v51
	v_add_f16_e32 v27, v29, v27
	v_add_f16_e32 v29, v48, v50
	;; [unrolled: 1-line block ×3, first 2 shown]
	v_fma_f16 v55, v30, s23, v54
	v_fma_f16 v54, v30, s22, v54
	v_sub_f16_e32 v30, v47, v49
	v_mul_f16_e32 v47, 0xb93d, v29
	v_fma_f16 v48, v30, s10, v47
	v_fma_f16 v47, v30, s20, v47
	v_add_f16_e32 v31, v47, v31
	v_mul_f16_e32 v47, 0xb08e, v29
	v_add_f16_e32 v32, v48, v32
	v_fma_f16 v48, v30, s15, v47
	v_fma_f16 v47, v30, s19, v47
	v_add_f16_e32 v34, v47, v34
	v_mul_f16_e32 v47, 0x3abb, v29
	v_mul_f16_e32 v50, 0xbbad, v29
	;; [unrolled: 1-line block ×3, first 2 shown]
	v_add_f16_e32 v48, v48, v52
	v_fma_f16 v52, v30, s18, v29
	v_fma_f16 v29, v30, s21, v29
	v_add_f16_e32 v11, v11, v46
	v_fma_f16 v49, v30, s23, v47
	v_fma_f16 v47, v30, s22, v47
	v_add_f16_e32 v27, v29, v27
	v_sub_f16_e32 v10, v10, v45
	v_mul_f16_e32 v29, 0xbbad, v11
	v_add_f16_e32 v47, v47, v51
	v_fma_f16 v51, v30, s25, v50
	v_fma_f16 v50, v30, s24, v50
	v_fma_f16 v30, v10, s25, v29
	v_fma_f16 v29, v10, s24, v29
	v_add_f16_e32 v75, v29, v31
	v_mul_f16_e32 v29, 0x3abb, v11
	v_add_f16_e32 v74, v30, v32
	v_fma_f16 v30, v10, s22, v29
	v_fma_f16 v29, v10, s23, v29
	v_add_f16_e32 v101, v29, v34
	v_mul_f16_e32 v29, 0xb93d, v11
	v_add_f16_e32 v53, v53, v58
	v_add_f16_e32 v100, v30, v48
	v_fma_f16 v30, v10, s10, v29
	v_fma_f16 v29, v10, s20, v29
	v_add_f16_e32 v59, v59, v61
	v_add_f16_e32 v60, v60, v62
	;; [unrolled: 1-line block ×5, first 2 shown]
	v_mul_f16_e32 v29, 0x36a6, v11
	v_add_f16_e32 v55, v55, v59
	v_add_f16_e32 v56, v56, v60
	v_add_f16_e32 v50, v50, v54
	v_add_f16_e32 v102, v30, v49
	v_fma_f16 v30, v10, s18, v29
	v_fma_f16 v29, v10, s21, v29
	v_mul_f16_e32 v11, 0xb08e, v11
	v_add_f16_e32 v51, v51, v55
	v_add_f16_e32 v52, v52, v56
	;; [unrolled: 1-line block ×3, first 2 shown]
	v_fma_f16 v29, v10, s19, v11
	v_fma_f16 v10, v10, s15, v11
	v_add_f16_e32 v105, v30, v51
	v_add_f16_e32 v107, v29, v52
	;; [unrolled: 1-line block ×3, first 2 shown]
	s_waitcnt lgkmcnt(0)
	; wave barrier
	s_waitcnt lgkmcnt(0)
	ds_read_u16 v58, v21 offset:3190
	ds_read_u16 v34, v22
	ds_read_u16 v32, v23
	;; [unrolled: 1-line block ×3, first 2 shown]
	v_lshl_add_u32 v10, v20, 1, 0
	v_lshl_add_u32 v11, v16, 1, 0
	ds_read_u16 v70, v21 offset:1540
	ds_read_u16 v66, v21 offset:1650
	;; [unrolled: 1-line block ×17, first 2 shown]
	ds_read_u16 v45, v21
	ds_read_u16 v72, v21 offset:770
	ds_read_u16 v69, v21 offset:880
	;; [unrolled: 1-line block ×11, first 2 shown]
	ds_read_u16 v30, v10
	ds_read_u16 v49, v21 offset:3740
	s_waitcnt lgkmcnt(0)
	; wave barrier
	s_waitcnt lgkmcnt(0)
	ds_write_b16 v103, v98
	ds_write_b16 v103, v80 offset:14
	ds_write_b16 v103, v81 offset:28
	ds_write_b16 v103, v83 offset:42
	ds_write_b16 v103, v85 offset:56
	ds_write_b16 v103, v87 offset:70
	ds_write_b16 v103, v88 offset:84
	ds_write_b16 v103, v86 offset:98
	ds_write_b16 v103, v84 offset:112
	ds_write_b16 v103, v82 offset:126
	ds_write_b16 v103, v78 offset:140
	ds_write_b16 v33, v91
	ds_write_b16 v33, v76 offset:14
	ds_write_b16 v33, v79 offset:28
	ds_write_b16 v33, v90 offset:42
	ds_write_b16 v33, v93 offset:56
	ds_write_b16 v33, v95 offset:70
	ds_write_b16 v33, v97 offset:84
	ds_write_b16 v33, v94 offset:98
	ds_write_b16 v33, v92 offset:112
	ds_write_b16 v33, v89 offset:126
	ds_write_b16 v33, v77 offset:140
	;; [unrolled: 11-line block ×3, first 2 shown]
	s_and_saveexec_b64 s[4:5], s[0:1]
	s_cbranch_execz .LBB0_21
; %bb.20:
	v_add_f16_e32 v33, v25, v42
	v_add_f16_e32 v33, v33, v38
	;; [unrolled: 1-line block ×10, first 2 shown]
	v_sub_f16_e32 v41, v41, v43
	v_mul_f16_e32 v43, 0x3abb, v42
	s_movk_i32 s0, 0x3853
	s_mov_b32 s1, 0xb853
	v_mul_f16_e32 v74, 0x36a6, v42
	s_movk_i32 s11, 0x3b47
	s_mov_b32 s12, 0xbb47
	;; [unrolled: 3-line block ×3, first 2 shown]
	v_mul_f16_e32 v78, 0xb93d, v42
	s_mov_b32 s15, 0xba0c
	v_mul_f16_e32 v42, 0xbbad, v42
	s_movk_i32 s18, 0x3482
	s_mov_b32 s19, 0xb482
	v_add_f16_e32 v38, v38, v40
	v_add_f16_e32 v33, v33, v44
	v_fma_f16 v44, v41, s0, v43
	v_fma_f16 v43, v41, s1, v43
	;; [unrolled: 1-line block ×10, first 2 shown]
	v_sub_f16_e32 v36, v36, v39
	v_mul_f16_e32 v39, 0x36a6, v38
	v_add_f16_e32 v44, v25, v44
	v_add_f16_e32 v43, v25, v43
	;; [unrolled: 1-line block ×10, first 2 shown]
	v_fma_f16 v40, v36, s11, v39
	v_fma_f16 v39, v36, s12, v39
	v_mul_f16_e32 v41, 0xb93d, v38
	v_add_f16_e32 v39, v39, v43
	v_fma_f16 v42, v36, s10, v41
	v_fma_f16 v41, v36, s15, v41
	v_mul_f16_e32 v43, 0xbbad, v38
	v_add_f16_e32 v40, v40, v44
	v_add_f16_e32 v41, v41, v74
	v_fma_f16 v44, v36, s19, v43
	v_fma_f16 v43, v36, s18, v43
	v_mul_f16_e32 v74, 0xb08e, v38
	v_mul_f16_e32 v38, 0x3abb, v38
	v_add_f16_e32 v9, v9, v37
	v_add_f16_e32 v42, v42, v75
	;; [unrolled: 1-line block ×3, first 2 shown]
	v_fma_f16 v75, v36, s14, v74
	v_fma_f16 v74, v36, s13, v74
	;; [unrolled: 1-line block ×4, first 2 shown]
	v_sub_f16_e32 v8, v8, v35
	v_mul_f16_e32 v35, 0xb08e, v9
	v_add_f16_e32 v25, v36, v25
	v_fma_f16 v36, v8, s13, v35
	v_fma_f16 v35, v8, s14, v35
	v_mul_f16_e32 v37, 0xbbad, v9
	v_add_f16_e32 v35, v35, v39
	v_fma_f16 v38, v8, s19, v37
	v_fma_f16 v37, v8, s18, v37
	v_mul_f16_e32 v39, 0x36a6, v9
	v_add_f16_e32 v5, v5, v7
	v_add_f16_e32 v36, v36, v40
	;; [unrolled: 1-line block ×3, first 2 shown]
	v_fma_f16 v40, v8, s12, v39
	v_fma_f16 v39, v8, s11, v39
	v_mul_f16_e32 v41, 0x3abb, v9
	v_mul_f16_e32 v9, 0xb93d, v9
	v_sub_f16_e32 v4, v4, v6
	v_mul_f16_e32 v6, 0xb93d, v5
	v_add_f16_e32 v38, v38, v42
	v_add_f16_e32 v39, v39, v43
	v_fma_f16 v42, v8, s0, v41
	v_fma_f16 v41, v8, s1, v41
	v_fma_f16 v43, v8, s10, v9
	v_fma_f16 v8, v8, s15, v9
	v_fma_f16 v7, v4, s10, v6
	v_fma_f16 v6, v4, s15, v6
	v_mul_f16_e32 v9, 0xb08e, v5
	v_add_f16_e32 v8, v8, v25
	v_add_f16_e32 v6, v6, v35
	v_fma_f16 v25, v4, s14, v9
	v_fma_f16 v9, v4, s13, v9
	v_mul_f16_e32 v35, 0x3abb, v5
	v_add_f16_e32 v1, v1, v3
	v_add_f16_e32 v7, v7, v36
	;; [unrolled: 1-line block ×3, first 2 shown]
	v_fma_f16 v36, v4, s0, v35
	v_fma_f16 v35, v4, s1, v35
	v_mul_f16_e32 v37, 0xbbad, v5
	v_mul_f16_e32 v5, 0x36a6, v5
	v_sub_f16_e32 v0, v0, v2
	v_mul_f16_e32 v2, 0xbbad, v1
	v_add_f16_e32 v25, v25, v38
	v_add_f16_e32 v35, v35, v39
	v_fma_f16 v38, v4, s18, v37
	v_fma_f16 v37, v4, s19, v37
	;; [unrolled: 1-line block ×6, first 2 shown]
	v_mul_f16_e32 v5, 0x3abb, v1
	v_add_f16_e32 v3, v3, v7
	v_add_f16_e32 v2, v2, v6
	v_fma_f16 v6, v0, s1, v5
	v_fma_f16 v5, v0, s0, v5
	v_mul_f16_e32 v7, 0xb93d, v1
	v_add_f16_e32 v4, v4, v8
	v_add_f16_e32 v5, v5, v9
	v_fma_f16 v8, v0, s10, v7
	v_fma_f16 v7, v0, s15, v7
	v_mul_f16_e32 v9, 0x36a6, v1
	v_mul_f16_e32 v1, 0xb08e, v1
	v_add_f16_e32 v6, v6, v25
	v_add_f16_e32 v7, v7, v35
	v_fma_f16 v25, v0, s12, v9
	v_fma_f16 v9, v0, s11, v9
	;; [unrolled: 1-line block ×4, first 2 shown]
	v_add_f16_e32 v44, v44, v77
	v_add_f16_e32 v75, v75, v79
	;; [unrolled: 1-line block ×5, first 2 shown]
	v_mov_b32_e32 v4, 1
	v_add_f16_e32 v40, v40, v44
	v_add_f16_e32 v42, v42, v75
	;; [unrolled: 1-line block ×4, first 2 shown]
	v_mul_u32_u24_e32 v1, 0x9a, v26
	v_lshlrev_b32_sdwa v4, v4, v28 dst_sel:DWORD dst_unused:UNUSED_PAD src0_sel:DWORD src1_sel:BYTE_0
	v_add_f16_e32 v36, v36, v40
	v_add_f16_e32 v38, v38, v42
	;; [unrolled: 1-line block ×4, first 2 shown]
	v_add3_u32 v1, 0, v1, v4
	v_add_f16_e32 v8, v8, v36
	v_add_f16_e32 v25, v25, v38
	v_add_f16_e32 v9, v9, v37
	v_add_f16_e32 v35, v35, v39
	ds_write_b16 v1, v33
	ds_write_b16 v1, v3 offset:14
	ds_write_b16 v1, v6 offset:28
	;; [unrolled: 1-line block ×10, first 2 shown]
.LBB0_21:
	s_or_b64 exec, exec, s[4:5]
	v_lshlrev_b32_e32 v6, 2, v16
	v_mov_b32_e32 v7, 0
	v_lshl_add_u64 v[4:5], v[6:7], 2, s[8:9]
	s_waitcnt lgkmcnt(0)
	; wave barrier
	s_waitcnt lgkmcnt(0)
	global_load_dwordx4 v[36:39], v[4:5], off offset:280
	v_subrev_u32_e32 v1, 22, v16
	v_cmp_gt_u32_e64 s[0:1], 22, v16
	v_add_u32_e32 v25, 0x113, v16
	v_add_u32_e32 v0, 0x14a, v16
	v_cndmask_b32_e64 v1, v1, v17, s[0:1]
	v_lshlrev_b32_e32 v6, 2, v1
	v_lshl_add_u64 v[2:3], v[6:7], 2, s[8:9]
	global_load_dwordx4 v[40:43], v[2:3], off offset:280
	s_movk_i32 s0, 0xd5
	v_mul_lo_u16_sdwa v2, v18, s0 dst_sel:DWORD dst_unused:UNUSED_PAD src0_sel:BYTE_0 src1_sel:DWORD
	v_lshrrev_b16_e32 v2, 14, v2
	v_mul_lo_u16_e32 v3, 0x4d, v2
	v_mov_b32_e32 v6, 4
	v_sub_u16_e32 v3, v18, v3
	v_lshlrev_b32_sdwa v6, v6, v3 dst_sel:DWORD dst_unused:UNUSED_PAD src0_sel:DWORD src1_sel:BYTE_0
	ds_read_u16 v44, v21 offset:3190
	ds_read_u16 v90, v22
	ds_read_u16 v91, v23
	;; [unrolled: 1-line block ×3, first 2 shown]
	ds_read_u16 v93, v21 offset:1540
	ds_read_u16 v94, v21 offset:1650
	;; [unrolled: 1-line block ×6, first 2 shown]
	global_load_dwordx4 v[74:77], v6, s[8:9] offset:280
	v_mul_lo_u16_sdwa v6, v19, s0 dst_sel:DWORD dst_unused:UNUSED_PAD src0_sel:BYTE_0 src1_sel:DWORD
	v_lshrrev_b16_e32 v6, 14, v6
	v_mul_lo_u16_e32 v6, 0x4d, v6
	v_sub_u16_e32 v6, v19, v6
	v_and_b32_e32 v6, 0xff, v6
	v_lshlrev_b32_e32 v9, 4, v6
	s_movk_i32 s0, 0x1a99
	ds_read_u16 v99, v21 offset:2420
	ds_read_u16 v100, v21 offset:2530
	;; [unrolled: 1-line block ×11, first 2 shown]
	global_load_dwordx4 v[78:81], v9, s[8:9] offset:280
	v_mul_u32_u24_sdwa v9, v20, s0 dst_sel:DWORD dst_unused:UNUSED_PAD src0_sel:WORD_0 src1_sel:DWORD
	ds_read_u16 v108, v21
	ds_read_u16 v86, v21 offset:770
	ds_read_u16 v109, v21 offset:880
	;; [unrolled: 1-line block ×9, first 2 shown]
	v_lshrrev_b32_e32 v9, 19, v9
	v_mul_lo_u16_e32 v26, 0x4d, v9
	v_sub_u16_e32 v26, v20, v26
	v_lshlrev_b32_e32 v28, 4, v26
	global_load_dwordx4 v[82:85], v28, s[8:9] offset:280
	ds_read_u16 v117, v21 offset:3080
	ds_read_u16 v118, v21 offset:2970
	ds_read_u16 v119, v10
	ds_read_u16 v120, v21 offset:3740
	v_mul_u32_u24_sdwa v28, v25, s0 dst_sel:DWORD dst_unused:UNUSED_PAD src0_sel:WORD_0 src1_sel:DWORD
	v_lshrrev_b32_e32 v28, 19, v28
	v_mul_lo_u16_e32 v33, 0x4d, v28
	v_sub_u16_e32 v33, v25, v33
	v_lshlrev_b32_e32 v87, 4, v33
	s_mov_b32 s4, 0xbb9c
	s_movk_i32 s11, 0x3b9c
	s_mov_b32 s5, 0xb8b4
	s_movk_i32 s12, 0x38b4
	s_movk_i32 s10, 0x34f2
	v_lshlrev_b32_e32 v1, 1, v1
	v_mul_u32_u24_e32 v2, 0x302, v2
	s_waitcnt vmcnt(4) lgkmcnt(12)
	v_mul_f16_sdwa v88, v86, v36 dst_sel:DWORD dst_unused:UNUSED_PAD src0_sel:DWORD src1_sel:WORD_1
	v_mul_f16_sdwa v89, v72, v36 dst_sel:DWORD dst_unused:UNUSED_PAD src0_sel:DWORD src1_sel:WORD_1
	;; [unrolled: 1-line block ×4, first 2 shown]
	v_fma_f16 v123, v72, v36, v88
	v_fma_f16 v124, v86, v36, -v89
	s_waitcnt lgkmcnt(5)
	v_mul_f16_sdwa v36, v115, v38 dst_sel:DWORD dst_unused:UNUSED_PAD src0_sel:DWORD src1_sel:WORD_1
	v_fma_f16 v121, v70, v37, v121
	v_fma_f16 v37, v93, v37, -v122
	v_fma_f16 v93, v73, v38, v36
	v_mul_f16_sdwa v36, v73, v38 dst_sel:DWORD dst_unused:UNUSED_PAD src0_sel:DWORD src1_sel:WORD_1
	v_fma_f16 v38, v115, v38, -v36
	s_waitcnt lgkmcnt(3)
	v_mul_f16_sdwa v36, v117, v39 dst_sel:DWORD dst_unused:UNUSED_PAD src0_sel:DWORD src1_sel:WORD_1
	v_fma_f16 v115, v71, v39, v36
	v_mul_f16_sdwa v36, v71, v39 dst_sel:DWORD dst_unused:UNUSED_PAD src0_sel:DWORD src1_sel:WORD_1
	v_fma_f16 v39, v117, v39, -v36
	v_mul_u32_u24_sdwa v36, v0, s0 dst_sel:DWORD dst_unused:UNUSED_PAD src0_sel:WORD_0 src1_sel:DWORD
	global_load_dwordx4 v[86:89], v87, s[8:9] offset:280
	v_lshrrev_b32_e32 v36, 19, v36
	v_mul_lo_u16_e32 v36, 0x4d, v36
	v_sub_u16_e32 v36, v0, v36
	v_lshlrev_b32_e32 v70, 4, v36
	global_load_dwordx4 v[70:73], v70, s[8:9] offset:280
	s_waitcnt vmcnt(5)
	v_mul_f16_sdwa v117, v109, v40 dst_sel:DWORD dst_unused:UNUSED_PAD src0_sel:DWORD src1_sel:WORD_1
	v_fma_f16 v117, v69, v40, v117
	v_mul_f16_sdwa v69, v69, v40 dst_sel:DWORD dst_unused:UNUSED_PAD src0_sel:DWORD src1_sel:WORD_1
	v_fma_f16 v40, v109, v40, -v69
	v_mul_f16_sdwa v69, v94, v41 dst_sel:DWORD dst_unused:UNUSED_PAD src0_sel:DWORD src1_sel:WORD_1
	v_fma_f16 v69, v66, v41, v69
	v_mul_f16_sdwa v66, v66, v41 dst_sel:DWORD dst_unused:UNUSED_PAD src0_sel:DWORD src1_sel:WORD_1
	v_fma_f16 v41, v94, v41, -v66
	;; [unrolled: 4-line block ×4, first 2 shown]
	s_waitcnt vmcnt(4)
	v_mul_f16_sdwa v44, v110, v74 dst_sel:DWORD dst_unused:UNUSED_PAD src0_sel:DWORD src1_sel:WORD_1
	v_mul_f16_sdwa v58, v68, v74 dst_sel:DWORD dst_unused:UNUSED_PAD src0_sel:DWORD src1_sel:WORD_1
	v_fma_f16 v44, v68, v74, v44
	v_fma_f16 v58, v110, v74, -v58
	v_mul_f16_sdwa v74, v100, v76 dst_sel:DWORD dst_unused:UNUSED_PAD src0_sel:DWORD src1_sel:WORD_1
	v_mul_f16_sdwa v68, v95, v75 dst_sel:DWORD dst_unused:UNUSED_PAD src0_sel:DWORD src1_sel:WORD_1
	v_fma_f16 v74, v63, v76, v74
	v_mul_f16_sdwa v63, v63, v76 dst_sel:DWORD dst_unused:UNUSED_PAD src0_sel:DWORD src1_sel:WORD_1
	v_fma_f16 v68, v62, v75, v68
	v_mul_f16_sdwa v62, v62, v75 dst_sel:DWORD dst_unused:UNUSED_PAD src0_sel:DWORD src1_sel:WORD_1
	v_fma_f16 v63, v100, v76, -v63
	s_waitcnt vmcnt(3)
	v_mul_f16_sdwa v76, v111, v78 dst_sel:DWORD dst_unused:UNUSED_PAD src0_sel:DWORD src1_sel:WORD_1
	v_fma_f16 v62, v95, v75, -v62
	v_mul_f16_sdwa v75, v104, v77 dst_sel:DWORD dst_unused:UNUSED_PAD src0_sel:DWORD src1_sel:WORD_1
	v_fma_f16 v76, v65, v78, v76
	v_mul_f16_sdwa v65, v65, v78 dst_sel:DWORD dst_unused:UNUSED_PAD src0_sel:DWORD src1_sel:WORD_1
	v_fma_f16 v75, v64, v77, v75
	v_mul_f16_sdwa v64, v64, v77 dst_sel:DWORD dst_unused:UNUSED_PAD src0_sel:DWORD src1_sel:WORD_1
	v_fma_f16 v65, v111, v78, -v65
	v_mul_f16_sdwa v78, v101, v80 dst_sel:DWORD dst_unused:UNUSED_PAD src0_sel:DWORD src1_sel:WORD_1
	v_fma_f16 v64, v104, v77, -v64
	v_mul_f16_sdwa v77, v96, v79 dst_sel:DWORD dst_unused:UNUSED_PAD src0_sel:DWORD src1_sel:WORD_1
	v_fma_f16 v78, v59, v80, v78
	v_mul_f16_sdwa v59, v59, v80 dst_sel:DWORD dst_unused:UNUSED_PAD src0_sel:DWORD src1_sel:WORD_1
	v_fma_f16 v77, v57, v79, v77
	v_mul_f16_sdwa v57, v57, v79 dst_sel:DWORD dst_unused:UNUSED_PAD src0_sel:DWORD src1_sel:WORD_1
	v_fma_f16 v59, v101, v80, -v59
	s_waitcnt vmcnt(2)
	v_mul_f16_sdwa v80, v112, v82 dst_sel:DWORD dst_unused:UNUSED_PAD src0_sel:DWORD src1_sel:WORD_1
	v_fma_f16 v57, v96, v79, -v57
	v_mul_f16_sdwa v79, v105, v81 dst_sel:DWORD dst_unused:UNUSED_PAD src0_sel:DWORD src1_sel:WORD_1
	v_fma_f16 v80, v61, v82, v80
	v_mul_f16_sdwa v61, v61, v82 dst_sel:DWORD dst_unused:UNUSED_PAD src0_sel:DWORD src1_sel:WORD_1
	v_fma_f16 v79, v60, v81, v79
	v_mul_f16_sdwa v60, v60, v81 dst_sel:DWORD dst_unused:UNUSED_PAD src0_sel:DWORD src1_sel:WORD_1
	v_fma_f16 v61, v112, v82, -v61
	v_mul_f16_sdwa v82, v102, v84 dst_sel:DWORD dst_unused:UNUSED_PAD src0_sel:DWORD src1_sel:WORD_1
	v_fma_f16 v60, v105, v81, -v60
	v_mul_f16_sdwa v81, v97, v83 dst_sel:DWORD dst_unused:UNUSED_PAD src0_sel:DWORD src1_sel:WORD_1
	v_fma_f16 v82, v54, v84, v82
	v_mul_f16_sdwa v54, v54, v84 dst_sel:DWORD dst_unused:UNUSED_PAD src0_sel:DWORD src1_sel:WORD_1
	v_fma_f16 v81, v53, v83, v81
	v_mul_f16_sdwa v53, v53, v83 dst_sel:DWORD dst_unused:UNUSED_PAD src0_sel:DWORD src1_sel:WORD_1
	v_fma_f16 v54, v102, v84, -v54
	v_fma_f16 v53, v97, v83, -v53
	v_mul_f16_sdwa v83, v106, v85 dst_sel:DWORD dst_unused:UNUSED_PAD src0_sel:DWORD src1_sel:WORD_1
	v_fma_f16 v83, v55, v85, v83
	v_mul_f16_sdwa v55, v55, v85 dst_sel:DWORD dst_unused:UNUSED_PAD src0_sel:DWORD src1_sel:WORD_1
	v_fma_f16 v55, v106, v85, -v55
	v_sub_f16_e32 v94, v124, v39
	v_sub_f16_e32 v96, v37, v38
	;; [unrolled: 1-line block ×6, first 2 shown]
	v_add_f16_e32 v100, v100, v101
	v_sub_f16_e32 v102, v117, v69
	v_sub_f16_e32 v104, v66, v67
	;; [unrolled: 1-line block ×3, first 2 shown]
	s_waitcnt vmcnt(1)
	v_mul_f16_sdwa v84, v113, v86 dst_sel:DWORD dst_unused:UNUSED_PAD src0_sel:DWORD src1_sel:WORD_1
	v_fma_f16 v84, v56, v86, v84
	v_mul_f16_sdwa v56, v56, v86 dst_sel:DWORD dst_unused:UNUSED_PAD src0_sel:DWORD src1_sel:WORD_1
	v_fma_f16 v56, v113, v86, -v56
	v_mul_f16_sdwa v86, v103, v88 dst_sel:DWORD dst_unused:UNUSED_PAD src0_sel:DWORD src1_sel:WORD_1
	v_mul_f16_sdwa v85, v98, v87 dst_sel:DWORD dst_unused:UNUSED_PAD src0_sel:DWORD src1_sel:WORD_1
	v_fma_f16 v86, v47, v88, v86
	v_mul_f16_sdwa v47, v47, v88 dst_sel:DWORD dst_unused:UNUSED_PAD src0_sel:DWORD src1_sel:WORD_1
	v_fma_f16 v85, v46, v87, v85
	v_mul_f16_sdwa v46, v46, v87 dst_sel:DWORD dst_unused:UNUSED_PAD src0_sel:DWORD src1_sel:WORD_1
	v_fma_f16 v47, v103, v88, -v47
	s_waitcnt vmcnt(0)
	v_mul_f16_sdwa v88, v114, v70 dst_sel:DWORD dst_unused:UNUSED_PAD src0_sel:DWORD src1_sel:WORD_1
	v_fma_f16 v46, v98, v87, -v46
	v_mul_f16_sdwa v87, v107, v89 dst_sel:DWORD dst_unused:UNUSED_PAD src0_sel:DWORD src1_sel:WORD_1
	v_fma_f16 v88, v52, v70, v88
	v_mul_f16_sdwa v52, v52, v70 dst_sel:DWORD dst_unused:UNUSED_PAD src0_sel:DWORD src1_sel:WORD_1
	v_fma_f16 v87, v48, v89, v87
	v_mul_f16_sdwa v48, v48, v89 dst_sel:DWORD dst_unused:UNUSED_PAD src0_sel:DWORD src1_sel:WORD_1
	v_fma_f16 v52, v114, v70, -v52
	v_mul_f16_sdwa v70, v116, v71 dst_sel:DWORD dst_unused:UNUSED_PAD src0_sel:DWORD src1_sel:WORD_1
	v_fma_f16 v48, v107, v89, -v48
	v_fma_f16 v70, v51, v71, v70
	v_mul_f16_sdwa v51, v51, v71 dst_sel:DWORD dst_unused:UNUSED_PAD src0_sel:DWORD src1_sel:WORD_1
	v_add_f16_e32 v89, v121, v93
	v_fma_f16 v51, v116, v71, -v51
	s_waitcnt lgkmcnt(2)
	v_mul_f16_sdwa v71, v118, v72 dst_sel:DWORD dst_unused:UNUSED_PAD src0_sel:DWORD src1_sel:WORD_1
	v_fma_f16 v89, v89, -0.5, v45
	v_fma_f16 v71, v50, v72, v71
	v_mul_f16_sdwa v50, v50, v72 dst_sel:DWORD dst_unused:UNUSED_PAD src0_sel:DWORD src1_sel:WORD_1
	v_fma_f16 v95, v94, s4, v89
	v_sub_f16_e32 v98, v115, v93
	v_fma_f16 v89, v94, s11, v89
	v_fma_f16 v50, v118, v72, -v50
	s_waitcnt lgkmcnt(0)
	v_mul_f16_sdwa v72, v120, v73 dst_sel:DWORD dst_unused:UNUSED_PAD src0_sel:DWORD src1_sel:WORD_1
	v_fma_f16 v95, v96, s5, v95
	v_add_f16_e32 v97, v97, v98
	v_fma_f16 v89, v96, s12, v89
	v_fma_f16 v72, v49, v73, v72
	v_mul_f16_sdwa v49, v49, v73 dst_sel:DWORD dst_unused:UNUSED_PAD src0_sel:DWORD src1_sel:WORD_1
	v_fma_f16 v95, v97, s10, v95
	v_fma_f16 v89, v97, s10, v89
	v_add_f16_e32 v97, v123, v115
	v_fma_f16 v49, v120, v73, -v49
	v_add_f16_e32 v73, v45, v123
	v_fma_f16 v45, v97, -0.5, v45
	v_fma_f16 v97, v96, s11, v45
	v_sub_f16_e32 v98, v121, v123
	v_fma_f16 v45, v96, s4, v45
	v_fma_f16 v97, v94, s5, v97
	v_add_f16_e32 v98, v98, v99
	v_fma_f16 v45, v94, s12, v45
	v_add_f16_e32 v96, v37, v38
	v_add_f16_e32 v73, v73, v121
	v_fma_f16 v97, v98, s10, v97
	v_fma_f16 v45, v98, s10, v45
	v_fma_f16 v96, v96, -0.5, v108
	v_sub_f16_e32 v98, v123, v115
	v_add_f16_e32 v73, v73, v93
	v_fma_f16 v99, v98, s11, v96
	v_sub_f16_e32 v93, v121, v93
	v_fma_f16 v96, v98, s4, v96
	v_add_f16_e32 v94, v108, v124
	v_fma_f16 v99, v93, s12, v99
	v_fma_f16 v96, v93, s5, v96
	v_add_f16_e32 v94, v94, v37
	v_fma_f16 v99, v100, s10, v99
	v_fma_f16 v96, v100, s10, v96
	v_add_f16_e32 v100, v124, v39
	v_add_f16_e32 v94, v94, v38
	v_fma_f16 v100, v100, -0.5, v108
	v_sub_f16_e32 v37, v37, v124
	v_sub_f16_e32 v38, v38, v39
	v_add_f16_e32 v37, v37, v38
	v_fma_f16 v38, v93, s11, v100
	v_fma_f16 v38, v98, s5, v38
	;; [unrolled: 1-line block ×4, first 2 shown]
	v_add_f16_e32 v38, v69, v66
	v_add_f16_e32 v94, v94, v39
	v_fma_f16 v38, v38, -0.5, v34
	v_sub_f16_e32 v39, v40, v43
	v_fma_f16 v101, v98, s12, v101
	v_fma_f16 v98, v39, s4, v38
	v_sub_f16_e32 v100, v41, v42
	v_sub_f16_e32 v103, v67, v66
	v_fma_f16 v38, v39, s11, v38
	v_fma_f16 v98, v100, s5, v98
	v_add_f16_e32 v102, v102, v103
	v_fma_f16 v38, v100, s12, v38
	v_fma_f16 v98, v102, s10, v98
	;; [unrolled: 1-line block ×3, first 2 shown]
	v_add_f16_e32 v102, v117, v67
	v_fma_f16 v101, v37, s10, v101
	v_add_f16_e32 v37, v34, v117
	v_fma_f16 v34, v102, -0.5, v34
	v_fma_f16 v102, v100, s11, v34
	v_fma_f16 v34, v100, s4, v34
	;; [unrolled: 1-line block ×4, first 2 shown]
	v_add_f16_e32 v39, v90, v40
	v_add_f16_e32 v39, v39, v41
	;; [unrolled: 1-line block ×5, first 2 shown]
	v_sub_f16_e32 v103, v69, v117
	v_add_f16_e32 v100, v39, v43
	v_add_f16_e32 v39, v41, v42
	;; [unrolled: 1-line block ×4, first 2 shown]
	v_fma_f16 v39, v39, -0.5, v90
	v_sub_f16_e32 v67, v117, v67
	v_fma_f16 v102, v103, s10, v102
	v_fma_f16 v34, v103, s10, v34
	;; [unrolled: 1-line block ×3, first 2 shown]
	v_sub_f16_e32 v66, v69, v66
	v_fma_f16 v69, v66, s12, v103
	v_sub_f16_e32 v103, v40, v41
	v_sub_f16_e32 v104, v43, v42
	v_fma_f16 v39, v67, s4, v39
	v_add_f16_e32 v103, v103, v104
	v_fma_f16 v39, v66, s5, v39
	v_fma_f16 v69, v103, s10, v69
	;; [unrolled: 1-line block ×3, first 2 shown]
	v_add_f16_e32 v39, v40, v43
	v_fma_f16 v39, v39, -0.5, v90
	v_fma_f16 v90, v66, s4, v39
	v_sub_f16_e32 v40, v41, v40
	v_sub_f16_e32 v41, v42, v43
	v_fma_f16 v39, v66, s11, v39
	v_fma_f16 v90, v67, s12, v90
	v_add_f16_e32 v40, v40, v41
	v_fma_f16 v39, v67, s5, v39
	v_fma_f16 v90, v40, s10, v90
	;; [unrolled: 1-line block ×3, first 2 shown]
	v_add_f16_e32 v40, v68, v74
	v_fma_f16 v40, v40, -0.5, v32
	v_sub_f16_e32 v41, v58, v64
	v_fma_f16 v42, v41, s4, v40
	v_sub_f16_e32 v43, v62, v63
	v_sub_f16_e32 v67, v44, v68
	;; [unrolled: 1-line block ×3, first 2 shown]
	v_fma_f16 v40, v41, s11, v40
	v_fma_f16 v42, v43, s5, v42
	v_add_f16_e32 v67, v67, v104
	v_fma_f16 v40, v43, s12, v40
	v_fma_f16 v42, v67, s10, v42
	;; [unrolled: 1-line block ×3, first 2 shown]
	v_add_f16_e32 v67, v44, v75
	v_add_f16_e32 v39, v32, v44
	v_fma_f16 v32, v67, -0.5, v32
	v_fma_f16 v67, v43, s11, v32
	v_fma_f16 v32, v43, s4, v32
	;; [unrolled: 1-line block ×4, first 2 shown]
	v_add_f16_e32 v41, v91, v58
	v_sub_f16_e32 v104, v68, v44
	v_add_f16_e32 v41, v41, v62
	v_add_f16_e32 v104, v104, v105
	;; [unrolled: 1-line block ×4, first 2 shown]
	v_fma_f16 v67, v104, s10, v67
	v_fma_f16 v32, v104, s10, v32
	v_add_f16_e32 v104, v41, v64
	v_add_f16_e32 v41, v62, v63
	;; [unrolled: 1-line block ×3, first 2 shown]
	v_fma_f16 v41, v41, -0.5, v91
	v_sub_f16_e32 v43, v44, v75
	v_add_f16_e32 v39, v39, v75
	v_fma_f16 v44, v43, s11, v41
	v_sub_f16_e32 v68, v68, v74
	v_sub_f16_e32 v74, v58, v62
	;; [unrolled: 1-line block ×3, first 2 shown]
	v_fma_f16 v41, v43, s4, v41
	v_fma_f16 v44, v68, s12, v44
	v_add_f16_e32 v74, v74, v75
	v_fma_f16 v41, v68, s5, v41
	v_fma_f16 v75, v74, s10, v44
	;; [unrolled: 1-line block ×3, first 2 shown]
	v_add_f16_e32 v41, v58, v64
	v_fma_f16 v41, v41, -0.5, v91
	v_fma_f16 v44, v68, s4, v41
	v_sub_f16_e32 v58, v62, v58
	v_sub_f16_e32 v62, v63, v64
	v_fma_f16 v41, v68, s11, v41
	v_fma_f16 v44, v43, s12, v44
	v_add_f16_e32 v58, v58, v62
	v_fma_f16 v41, v43, s5, v41
	v_add_f16_e32 v43, v77, v78
	v_fma_f16 v62, v58, s10, v44
	v_fma_f16 v43, v43, -0.5, v31
	v_sub_f16_e32 v44, v65, v60
	v_fma_f16 v63, v58, s10, v41
	v_fma_f16 v58, v44, s4, v43
	v_sub_f16_e32 v64, v57, v59
	v_sub_f16_e32 v68, v76, v77
	;; [unrolled: 1-line block ×3, first 2 shown]
	v_fma_f16 v43, v44, s11, v43
	v_fma_f16 v58, v64, s5, v58
	v_add_f16_e32 v68, v68, v91
	v_fma_f16 v43, v64, s12, v43
	v_fma_f16 v58, v68, s10, v58
	;; [unrolled: 1-line block ×3, first 2 shown]
	v_add_f16_e32 v68, v76, v79
	v_add_f16_e32 v41, v31, v76
	v_fma_f16 v31, v68, -0.5, v31
	v_fma_f16 v68, v64, s11, v31
	v_fma_f16 v31, v64, s4, v31
	;; [unrolled: 1-line block ×4, first 2 shown]
	v_add_f16_e32 v44, v92, v65
	v_add_f16_e32 v44, v44, v57
	;; [unrolled: 1-line block ×7, first 2 shown]
	v_sub_f16_e32 v91, v77, v76
	v_sub_f16_e32 v105, v78, v79
	v_fma_f16 v44, v44, -0.5, v92
	v_sub_f16_e32 v76, v76, v79
	v_add_f16_e32 v41, v41, v79
	v_add_f16_e32 v91, v91, v105
	v_fma_f16 v79, v76, s11, v44
	v_sub_f16_e32 v77, v77, v78
	v_fma_f16 v68, v91, s10, v68
	v_fma_f16 v31, v91, s10, v31
	v_fma_f16 v78, v77, s12, v79
	v_sub_f16_e32 v79, v65, v57
	v_sub_f16_e32 v91, v60, v59
	v_fma_f16 v44, v76, s4, v44
	v_add_f16_e32 v79, v79, v91
	v_fma_f16 v44, v77, s5, v44
	v_fma_f16 v78, v79, s10, v78
	;; [unrolled: 1-line block ×3, first 2 shown]
	v_add_f16_e32 v44, v65, v60
	v_fma_f16 v44, v44, -0.5, v92
	v_fma_f16 v91, v77, s4, v44
	v_sub_f16_e32 v57, v57, v65
	v_sub_f16_e32 v59, v59, v60
	v_fma_f16 v44, v77, s11, v44
	v_fma_f16 v91, v76, s12, v91
	v_add_f16_e32 v57, v57, v59
	v_fma_f16 v44, v76, s5, v44
	v_fma_f16 v65, v57, s10, v91
	;; [unrolled: 1-line block ×3, first 2 shown]
	v_add_f16_e32 v57, v81, v82
	v_fma_f16 v57, v57, -0.5, v30
	v_sub_f16_e32 v59, v61, v55
	v_fma_f16 v60, v59, s4, v57
	v_sub_f16_e32 v77, v53, v54
	v_sub_f16_e32 v91, v80, v81
	;; [unrolled: 1-line block ×3, first 2 shown]
	v_fma_f16 v57, v59, s11, v57
	v_fma_f16 v60, v77, s5, v60
	v_add_f16_e32 v91, v91, v92
	v_fma_f16 v57, v77, s12, v57
	v_fma_f16 v60, v91, s10, v60
	;; [unrolled: 1-line block ×3, first 2 shown]
	v_add_f16_e32 v91, v80, v83
	v_add_f16_e32 v44, v30, v80
	v_fma_f16 v30, v91, -0.5, v30
	v_fma_f16 v91, v77, s11, v30
	v_fma_f16 v30, v77, s4, v30
	;; [unrolled: 1-line block ×4, first 2 shown]
	v_add_f16_e32 v59, v119, v61
	v_add_f16_e32 v59, v59, v53
	;; [unrolled: 1-line block ×7, first 2 shown]
	v_sub_f16_e32 v92, v81, v80
	v_sub_f16_e32 v105, v82, v83
	v_fma_f16 v59, v59, -0.5, v119
	v_sub_f16_e32 v80, v80, v83
	v_add_f16_e32 v44, v44, v83
	v_add_f16_e32 v92, v92, v105
	v_fma_f16 v83, v80, s11, v59
	v_sub_f16_e32 v81, v81, v82
	v_fma_f16 v91, v92, s10, v91
	v_fma_f16 v30, v92, s10, v30
	;; [unrolled: 1-line block ×3, first 2 shown]
	v_sub_f16_e32 v83, v61, v53
	v_sub_f16_e32 v92, v55, v54
	v_fma_f16 v59, v80, s4, v59
	v_add_f16_e32 v83, v83, v92
	v_fma_f16 v59, v81, s5, v59
	v_fma_f16 v82, v83, s10, v82
	;; [unrolled: 1-line block ×3, first 2 shown]
	v_add_f16_e32 v59, v61, v55
	v_fma_f16 v59, v59, -0.5, v119
	v_sub_f16_e32 v53, v53, v61
	v_sub_f16_e32 v54, v54, v55
	v_add_f16_e32 v53, v53, v54
	v_fma_f16 v54, v81, s11, v59
	v_fma_f16 v92, v81, s4, v59
	;; [unrolled: 1-line block ×5, first 2 shown]
	v_add_f16_e32 v54, v85, v86
	v_fma_f16 v54, v54, -0.5, v29
	v_sub_f16_e32 v55, v56, v48
	v_fma_f16 v61, v53, s10, v92
	v_fma_f16 v59, v55, s4, v54
	v_sub_f16_e32 v81, v46, v47
	v_sub_f16_e32 v92, v84, v85
	;; [unrolled: 1-line block ×3, first 2 shown]
	v_fma_f16 v54, v55, s11, v54
	v_fma_f16 v59, v81, s5, v59
	v_add_f16_e32 v92, v92, v105
	v_fma_f16 v54, v81, s12, v54
	v_fma_f16 v59, v92, s10, v59
	;; [unrolled: 1-line block ×3, first 2 shown]
	v_add_f16_e32 v92, v84, v87
	v_add_f16_e32 v53, v29, v84
	v_fma_f16 v29, v92, -0.5, v29
	v_fma_f16 v92, v81, s11, v29
	v_fma_f16 v29, v81, s4, v29
	;; [unrolled: 1-line block ×4, first 2 shown]
	v_add_f16_e32 v55, v35, v56
	v_add_f16_e32 v55, v55, v46
	;; [unrolled: 1-line block ×7, first 2 shown]
	v_sub_f16_e32 v105, v85, v84
	v_sub_f16_e32 v106, v86, v87
	v_fma_f16 v55, v55, -0.5, v35
	v_sub_f16_e32 v84, v84, v87
	v_add_f16_e32 v53, v53, v87
	v_add_f16_e32 v105, v105, v106
	v_fma_f16 v87, v84, s11, v55
	v_sub_f16_e32 v85, v85, v86
	v_fma_f16 v92, v105, s10, v92
	v_fma_f16 v29, v105, s10, v29
	;; [unrolled: 1-line block ×3, first 2 shown]
	v_sub_f16_e32 v87, v56, v46
	v_sub_f16_e32 v105, v48, v47
	v_fma_f16 v55, v84, s4, v55
	v_add_f16_e32 v87, v87, v105
	v_fma_f16 v55, v85, s5, v55
	v_fma_f16 v86, v87, s10, v86
	;; [unrolled: 1-line block ×3, first 2 shown]
	v_add_f16_e32 v55, v56, v48
	v_fma_f16 v35, v55, -0.5, v35
	v_fma_f16 v55, v85, s4, v35
	v_sub_f16_e32 v46, v46, v56
	v_sub_f16_e32 v47, v47, v48
	v_fma_f16 v35, v85, s11, v35
	v_fma_f16 v55, v84, s12, v55
	v_add_f16_e32 v46, v46, v47
	v_fma_f16 v35, v84, s5, v35
	v_fma_f16 v105, v46, s10, v55
	;; [unrolled: 1-line block ×3, first 2 shown]
	v_add_f16_e32 v46, v70, v71
	v_fma_f16 v46, v46, -0.5, v27
	v_sub_f16_e32 v47, v52, v49
	v_fma_f16 v48, v47, s4, v46
	v_sub_f16_e32 v55, v51, v50
	v_sub_f16_e32 v56, v88, v70
	;; [unrolled: 1-line block ×3, first 2 shown]
	v_fma_f16 v46, v47, s11, v46
	v_fma_f16 v48, v55, s5, v48
	v_add_f16_e32 v56, v56, v85
	v_fma_f16 v46, v55, s12, v46
	v_fma_f16 v48, v56, s10, v48
	;; [unrolled: 1-line block ×3, first 2 shown]
	v_add_f16_e32 v56, v88, v72
	v_add_f16_e32 v35, v27, v88
	v_fma_f16 v27, v56, -0.5, v27
	v_fma_f16 v56, v55, s11, v27
	v_fma_f16 v27, v55, s4, v27
	;; [unrolled: 1-line block ×4, first 2 shown]
	v_add_f16_e32 v47, v8, v52
	v_sub_f16_e32 v85, v70, v88
	v_sub_f16_e32 v106, v71, v72
	v_add_f16_e32 v47, v47, v51
	v_add_f16_e32 v85, v85, v106
	;; [unrolled: 1-line block ×5, first 2 shown]
	v_fma_f16 v56, v85, s10, v56
	v_fma_f16 v27, v85, s10, v27
	v_add_f16_e32 v85, v47, v49
	v_add_f16_e32 v47, v51, v50
	;; [unrolled: 1-line block ×3, first 2 shown]
	v_fma_f16 v47, v47, -0.5, v8
	v_sub_f16_e32 v55, v88, v72
	s_waitcnt lgkmcnt(0)
	; wave barrier
	ds_write_b16 v21, v73
	ds_write_b16 v21, v95 offset:154
	ds_write_b16 v21, v97 offset:308
	;; [unrolled: 1-line block ×4, first 2 shown]
	v_mov_b32_e32 v45, 0x302
	v_cmp_lt_u32_e64 s[0:1], 21, v16
	v_add_f16_e32 v35, v35, v72
	v_fma_f16 v72, v55, s11, v47
	v_sub_f16_e32 v70, v70, v71
	v_cndmask_b32_e64 v45, 0, v45, s[0:1]
	v_fma_f16 v71, v70, s12, v72
	v_sub_f16_e32 v72, v52, v51
	v_sub_f16_e32 v88, v49, v50
	v_fma_f16 v47, v55, s4, v47
	v_add3_u32 v1, 0, v45, v1
	v_add_f16_e32 v72, v72, v88
	v_fma_f16 v47, v70, s5, v47
	ds_write_b16 v1, v37
	ds_write_b16 v1, v98 offset:154
	ds_write_b16 v1, v102 offset:308
	;; [unrolled: 1-line block ×4, first 2 shown]
	v_mov_b32_e32 v34, 1
	v_fma_f16 v71, v72, s10, v71
	v_fma_f16 v72, v72, s10, v47
	v_add_f16_e32 v47, v52, v49
	v_lshlrev_b32_sdwa v3, v34, v3 dst_sel:DWORD dst_unused:UNUSED_PAD src0_sel:DWORD src1_sel:BYTE_0
	v_fma_f16 v8, v47, -0.5, v8
	v_add3_u32 v2, 0, v2, v3
	v_lshl_add_u32 v3, v6, 1, 0
	v_mul_u32_u24_e32 v6, 0x302, v9
	v_lshlrev_b32_e32 v9, 1, v26
	v_fma_f16 v47, v70, s4, v8
	v_sub_f16_e32 v51, v51, v52
	v_sub_f16_e32 v49, v50, v49
	v_fma_f16 v8, v70, s11, v8
	v_add3_u32 v6, 0, v6, v9
	v_mul_u32_u24_e32 v9, 0x302, v28
	v_lshlrev_b32_e32 v26, 1, v33
	v_fma_f16 v47, v55, s12, v47
	v_add_f16_e32 v49, v51, v49
	v_fma_f16 v8, v55, s5, v8
	ds_write_b16 v2, v39
	ds_write_b16 v2, v42 offset:154
	ds_write_b16 v2, v67 offset:308
	;; [unrolled: 1-line block ×4, first 2 shown]
	v_add3_u32 v9, 0, v9, v26
	v_lshl_add_u32 v67, v36, 1, 0
	v_fma_f16 v88, v49, s10, v47
	v_fma_f16 v8, v49, s10, v8
	ds_write_b16 v3, v41 offset:1540
	ds_write_b16 v3, v58 offset:1694
	;; [unrolled: 1-line block ×5, first 2 shown]
	ds_write_b16 v6, v44
	ds_write_b16 v6, v60 offset:154
	ds_write_b16 v6, v91 offset:308
	;; [unrolled: 1-line block ×4, first 2 shown]
	ds_write_b16 v9, v53
	ds_write_b16 v9, v59 offset:154
	ds_write_b16 v9, v92 offset:308
	;; [unrolled: 1-line block ×9, first 2 shown]
	s_waitcnt lgkmcnt(0)
	; wave barrier
	s_waitcnt lgkmcnt(0)
	ds_read_u16 v32, v21 offset:3190
	ds_read_u16 v28, v22
	ds_read_u16 v35, v23
	;; [unrolled: 1-line block ×3, first 2 shown]
	ds_read_u16 v27, v21 offset:1540
	ds_read_u16 v33, v21 offset:1650
	;; [unrolled: 1-line block ×17, first 2 shown]
	ds_read_u16 v26, v21
	ds_read_u16 v30, v21 offset:770
	ds_read_u16 v36, v21 offset:880
	;; [unrolled: 1-line block ×11, first 2 shown]
	ds_read_u16 v46, v10
	ds_read_u16 v60, v21 offset:3740
	s_waitcnt lgkmcnt(0)
	; wave barrier
	s_waitcnt lgkmcnt(0)
	ds_write_b16 v21, v94
	ds_write_b16 v21, v99 offset:154
	ds_write_b16 v21, v101 offset:308
	ds_write_b16 v21, v93 offset:462
	ds_write_b16 v21, v96 offset:616
	ds_write_b16 v1, v100
	ds_write_b16 v1, v69 offset:154
	ds_write_b16 v1, v90 offset:308
	ds_write_b16 v1, v66 offset:462
	ds_write_b16 v1, v103 offset:616
	;; [unrolled: 5-line block ×3, first 2 shown]
	ds_write_b16 v3, v64 offset:1540
	ds_write_b16 v3, v78 offset:1694
	;; [unrolled: 1-line block ×5, first 2 shown]
	ds_write_b16 v6, v77
	ds_write_b16 v6, v82 offset:154
	ds_write_b16 v6, v61 offset:308
	;; [unrolled: 1-line block ×4, first 2 shown]
	ds_write_b16 v9, v81
	ds_write_b16 v9, v86 offset:154
	ds_write_b16 v9, v105 offset:308
	;; [unrolled: 1-line block ×9, first 2 shown]
	s_waitcnt lgkmcnt(0)
	; wave barrier
	s_waitcnt lgkmcnt(0)
	s_and_saveexec_b64 s[0:1], vcc
	s_cbranch_execz .LBB0_23
; %bb.22:
	v_lshlrev_b32_e32 v6, 2, v0
	v_lshl_add_u64 v[0:1], v[6:7], 2, s[8:9]
	global_load_dwordx4 v[0:3], v[0:1], off offset:1512
	v_lshlrev_b32_e32 v6, 2, v25
	v_mul_lo_u32 v61, s3, v14
	v_mad_u64_u32 v[8:9], s[0:1], s2, v14, 0
	ds_read_u16 v78, v21 offset:2310
	ds_read_u16 v14, v21 offset:2200
	ds_read_u16 v70, v21 offset:2090
	ds_read_u16 v66, v11 offset:660
	ds_read_u16 v71, v11 offset:550
	ds_read_u16 v74, v10
	ds_read_u16 v67, v21 offset:3740
	ds_read_u16 v72, v21 offset:3630
	;; [unrolled: 1-line block ×4, first 2 shown]
	v_lshl_add_u64 v[10:11], v[6:7], 2, s[8:9]
	global_load_dwordx4 v[62:65], v[10:11], off offset:1512
	ds_read_u16 v6, v21 offset:2970
	ds_read_u16 v73, v21 offset:2860
	;; [unrolled: 1-line block ×4, first 2 shown]
	v_mul_lo_u32 v15, s2, v15
	v_add3_u32 v9, v9, v15, v61
	ds_read_u16 v24, v24
	ds_read_u16 v22, v22
	;; [unrolled: 1-line block ×3, first 2 shown]
	s_mov_b32 s0, 0x551c979b
	s_movk_i32 s1, 0x785
	s_waitcnt vmcnt(1)
	v_mul_f16_sdwa v10, v48, v0 dst_sel:DWORD dst_unused:UNUSED_PAD src0_sel:DWORD src1_sel:WORD_1
	v_mul_f16_sdwa v15, v49, v1 dst_sel:DWORD dst_unused:UNUSED_PAD src0_sel:DWORD src1_sel:WORD_1
	s_waitcnt lgkmcnt(4)
	v_mul_f16_sdwa v68, v11, v0 dst_sel:DWORD dst_unused:UNUSED_PAD src0_sel:DWORD src1_sel:WORD_1
	v_mul_f16_sdwa v69, v67, v3 dst_sel:DWORD dst_unused:UNUSED_PAD src0_sel:DWORD src1_sel:WORD_1
	;; [unrolled: 1-line block ×6, first 2 shown]
	v_fma_f16 v10, v0, v11, -v10
	v_fma_f16 v11, v1, v14, -v15
	v_fma_f16 v0, v48, v0, v68
	v_fma_f16 v48, v60, v3, v69
	;; [unrolled: 1-line block ×3, first 2 shown]
	v_fma_f16 v14, v3, v67, -v25
	v_fma_f16 v6, v2, v6, -v61
	v_fma_f16 v49, v59, v2, v77
	v_sub_f16_e32 v59, v0, v48
	v_sub_f16_e32 v25, v0, v1
	;; [unrolled: 1-line block ×3, first 2 shown]
	v_add_f16_e32 v84, v0, v48
	v_add_f16_e32 v0, v47, v0
	v_sub_f16_e32 v2, v10, v11
	v_sub_f16_e32 v3, v14, v6
	v_add_f16_e32 v15, v11, v6
	v_add_f16_e32 v67, v1, v49
	;; [unrolled: 1-line block ×4, first 2 shown]
	v_sub_f16_e32 v60, v1, v49
	v_sub_f16_e32 v61, v48, v49
	;; [unrolled: 1-line block ×5, first 2 shown]
	v_add_f16_e32 v10, v10, v66
	v_add_f16_e32 v85, v2, v3
	v_fma_f16 v86, v15, -0.5, v66
	v_fma_f16 v67, v67, -0.5, v47
	;; [unrolled: 1-line block ×4, first 2 shown]
	v_add_f16_e32 v0, v0, v49
	v_sub_f16_e32 v77, v6, v14
	v_sub_f16_e32 v83, v49, v48
	v_add_f16_e32 v61, v25, v61
	v_add_f16_e32 v10, v11, v10
	v_fma_f16 v11, v68, s11, v67
	v_fma_f16 v25, v60, s11, v2
	v_fma_f16 v47, v69, s4, v3
	v_add_f16_e32 v49, v48, v0
	v_fma_f16 v0, v59, s11, v86
	v_add_f16_e32 v15, v76, v77
	v_add_f16_e32 v66, v82, v83
	v_fma_f16 v3, v69, s11, v3
	v_add_f16_e32 v6, v6, v10
	v_fma_f16 v10, v69, s12, v11
	v_fma_f16 v11, v59, s5, v25
	;; [unrolled: 1-line block ×13, first 2 shown]
	v_add_f16_e32 v25, v14, v6
	v_fma_f16 v0, v69, s5, v0
	v_lshlrev_b32_e32 v6, 2, v20
	v_fma_f16 v76, v59, s12, v2
	v_fma_f16 v2, v85, s10, v1
	v_fma_f16 v48, v61, s10, v0
	v_lshl_add_u64 v[0:1], v[6:7], 2, s[8:9]
	v_fma_f16 v14, v15, s10, v76
	v_fma_f16 v15, v66, s10, v77
	global_load_dwordx4 v[66:69], v[0:1], off offset:1512
	s_waitcnt vmcnt(1)
	v_mul_f16_sdwa v20, v57, v65 dst_sel:DWORD dst_unused:UNUSED_PAD src0_sel:DWORD src1_sel:WORD_1
	v_mul_f16_sdwa v0, v58, v62 dst_sel:DWORD dst_unused:UNUSED_PAD src0_sel:DWORD src1_sel:WORD_1
	;; [unrolled: 1-line block ×3, first 2 shown]
	v_fma_f16 v82, v65, v72, -v20
	v_mul_f16_sdwa v20, v56, v64 dst_sel:DWORD dst_unused:UNUSED_PAD src0_sel:DWORD src1_sel:WORD_1
	ds_read_u16 v76, v21 offset:1210
	s_waitcnt lgkmcnt(4)
	v_fma_f16 v0, v62, v75, -v0
	v_fma_f16 v1, v63, v70, -v1
	;; [unrolled: 1-line block ×3, first 2 shown]
	v_sub_f16_e32 v6, v0, v1
	v_sub_f16_e32 v20, v82, v84
	v_add_f16_e32 v6, v6, v20
	v_add_f16_e32 v20, v1, v84
	v_fma_f16 v60, v20, -0.5, v71
	v_mul_f16_sdwa v20, v75, v62 dst_sel:DWORD dst_unused:UNUSED_PAD src0_sel:DWORD src1_sel:WORD_1
	v_fma_f16 v75, v58, v62, v20
	v_mul_f16_sdwa v20, v72, v65 dst_sel:DWORD dst_unused:UNUSED_PAD src0_sel:DWORD src1_sel:WORD_1
	v_fma_f16 v65, v57, v65, v20
	;; [unrolled: 2-line block ×4, first 2 shown]
	v_sub_f16_e32 v61, v75, v65
	v_sub_f16_e32 v55, v75, v63
	;; [unrolled: 1-line block ×3, first 2 shown]
	v_fma_f16 v20, v61, s4, v60
	v_sub_f16_e32 v62, v63, v64
	v_add_f16_e32 v70, v55, v56
	v_add_f16_e32 v55, v63, v64
	v_sub_f16_e32 v56, v1, v0
	v_sub_f16_e32 v57, v84, v82
	v_fma_f16 v60, v61, s11, v60
	v_fma_f16 v20, v62, s5, v20
	v_fma_f16 v72, v55, -0.5, v54
	v_sub_f16_e32 v73, v0, v82
	v_add_f16_e32 v58, v56, v57
	v_add_f16_e32 v56, v0, v82
	v_fma_f16 v60, v62, s12, v60
	v_fma_f16 v20, v6, s10, v20
	v_sub_f16_e32 v85, v1, v84
	v_fma_f16 v59, v56, -0.5, v71
	v_sub_f16_e32 v57, v63, v75
	v_sub_f16_e32 v86, v64, v65
	v_fma_f16 v60, v6, s10, v60
	v_fma_f16 v6, v73, s4, v72
	v_add_f16_e32 v0, v0, v71
	v_fma_f16 v56, v62, s11, v59
	v_add_f16_e32 v86, v57, v86
	v_add_f16_e32 v57, v75, v65
	v_fma_f16 v59, v62, s4, v59
	v_fma_f16 v6, v85, s5, v6
	v_add_f16_e32 v0, v1, v0
	v_fma_f16 v55, v73, s11, v72
	v_fma_f16 v56, v61, s5, v56
	v_fma_f16 v87, v57, -0.5, v54
	v_fma_f16 v59, v61, s12, v59
	v_fma_f16 v61, v70, s10, v6
	v_add_f16_e32 v0, v84, v0
	v_lshlrev_b32_e32 v6, 2, v19
	ds_read_u16 v81, v21 offset:3520
	v_fma_f16 v55, v85, s12, v55
	v_fma_f16 v56, v58, s10, v56
	;; [unrolled: 1-line block ×5, first 2 shown]
	v_add_f16_e32 v62, v82, v0
	v_lshl_add_u64 v[0:1], v[6:7], 2, s[8:9]
	ds_read_u16 v77, v21 offset:1980
	ds_read_u16 v83, v21 offset:2750
	;; [unrolled: 1-line block ×3, first 2 shown]
	v_fma_f16 v55, v70, s10, v55
	v_fma_f16 v57, v73, s12, v57
	;; [unrolled: 1-line block ×3, first 2 shown]
	global_load_dwordx4 v[70:73], v[0:1], off offset:1512
	v_add_f16_e32 v54, v54, v75
	v_add_f16_e32 v0, v54, v63
	v_add_f16_e32 v0, v0, v64
	v_add_f16_e32 v19, v65, v0
	v_fma_f16 v57, v86, s10, v57
	s_waitcnt vmcnt(1)
	v_mul_f16_sdwa v54, v52, v69 dst_sel:DWORD dst_unused:UNUSED_PAD src0_sel:DWORD src1_sel:WORD_1
	v_mul_f16_sdwa v0, v53, v66 dst_sel:DWORD dst_unused:UNUSED_PAD src0_sel:DWORD src1_sel:WORD_1
	;; [unrolled: 1-line block ×3, first 2 shown]
	s_waitcnt lgkmcnt(3)
	v_fma_f16 v75, v69, v81, -v54
	v_mul_f16_sdwa v54, v51, v68 dst_sel:DWORD dst_unused:UNUSED_PAD src0_sel:DWORD src1_sel:WORD_1
	v_fma_f16 v59, v86, s10, v59
	ds_read_u16 v82, v21 offset:1100
	v_fma_f16 v0, v66, v76, -v0
	ds_read_u16 v86, v21 offset:2640
	ds_read_u16 v84, v21 offset:1870
	s_waitcnt lgkmcnt(5)
	v_fma_f16 v1, v67, v77, -v1
	s_waitcnt lgkmcnt(4)
	v_fma_f16 v87, v68, v83, -v54
	v_sub_f16_e32 v6, v0, v1
	v_sub_f16_e32 v54, v75, v87
	v_add_f16_e32 v6, v6, v54
	v_add_f16_e32 v54, v1, v87
	v_fma_f16 v64, v54, -0.5, v74
	v_mul_f16_sdwa v54, v76, v66 dst_sel:DWORD dst_unused:UNUSED_PAD src0_sel:DWORD src1_sel:WORD_1
	v_fma_f16 v76, v53, v66, v54
	v_mul_f16_sdwa v53, v81, v69 dst_sel:DWORD dst_unused:UNUSED_PAD src0_sel:DWORD src1_sel:WORD_1
	v_fma_f16 v69, v52, v69, v53
	;; [unrolled: 2-line block ×3, first 2 shown]
	v_mul_f16_sdwa v50, v83, v68 dst_sel:DWORD dst_unused:UNUSED_PAD src0_sel:DWORD src1_sel:WORD_1
	v_sub_f16_e32 v65, v76, v69
	v_fma_f16 v68, v51, v68, v50
	v_fma_f16 v52, v65, s4, v64
	v_sub_f16_e32 v66, v67, v68
	v_fma_f16 v50, v66, s5, v52
	v_sub_f16_e32 v51, v76, v67
	v_sub_f16_e32 v52, v69, v68
	v_add_f16_e32 v77, v51, v52
	v_sub_f16_e32 v52, v1, v0
	v_sub_f16_e32 v53, v87, v75
	;; [unrolled: 1-line block ×3, first 2 shown]
	v_add_f16_e32 v54, v52, v53
	v_add_f16_e32 v52, v0, v75
	;; [unrolled: 1-line block ×4, first 2 shown]
	v_fma_f16 v64, v65, s11, v64
	v_add_f16_e32 v0, v1, v0
	v_fma_f16 v81, v51, -0.5, v46
	v_fma_f16 v63, v52, -0.5, v74
	v_fma_f16 v64, v66, s12, v64
	v_add_f16_e32 v0, v87, v0
	v_fma_f16 v50, v6, s10, v50
	v_sub_f16_e32 v88, v1, v87
	v_fma_f16 v52, v66, s11, v63
	v_fma_f16 v63, v66, s4, v63
	;; [unrolled: 1-line block ×4, first 2 shown]
	v_add_f16_e32 v66, v75, v0
	v_add_f16_e32 v0, v46, v76
	v_sub_f16_e32 v53, v67, v76
	v_sub_f16_e32 v89, v68, v69
	v_fma_f16 v6, v88, s5, v6
	v_add_f16_e32 v0, v0, v67
	v_fma_f16 v51, v83, s11, v81
	v_fma_f16 v52, v65, s5, v52
	v_add_f16_e32 v89, v53, v89
	v_add_f16_e32 v53, v76, v69
	v_fma_f16 v63, v65, s12, v63
	v_fma_f16 v65, v77, s10, v6
	v_add_f16_e32 v0, v0, v68
	v_lshlrev_b32_e32 v6, 2, v18
	ds_read_u16 v18, v21 offset:1760
	v_fma_f16 v51, v88, s12, v51
	v_fma_f16 v90, v53, -0.5, v46
	v_add_f16_e32 v46, v69, v0
	v_lshl_add_u64 v[0:1], v[6:7], 2, s[8:9]
	v_fma_f16 v51, v77, s10, v51
	global_load_dwordx4 v[74:77], v[0:1], off offset:1512
	v_fma_f16 v52, v54, s10, v52
	v_fma_f16 v53, v88, s4, v90
	s_waitcnt vmcnt(1)
	v_mul_f16_sdwa v67, v42, v71 dst_sel:DWORD dst_unused:UNUSED_PAD src0_sel:DWORD src1_sel:WORD_1
	s_waitcnt lgkmcnt(1)
	v_fma_f16 v0, v71, v84, -v67
	v_mul_f16_sdwa v1, v45, v70 dst_sel:DWORD dst_unused:UNUSED_PAD src0_sel:DWORD src1_sel:WORD_1
	v_mul_f16_sdwa v81, v43, v73 dst_sel:DWORD dst_unused:UNUSED_PAD src0_sel:DWORD src1_sel:WORD_1
	;; [unrolled: 1-line block ×3, first 2 shown]
	ds_read_u16 v67, v21 offset:990
	v_fma_f16 v1, v70, v82, -v1
	v_mul_f16_sdwa v68, v44, v72 dst_sel:DWORD dst_unused:UNUSED_PAD src0_sel:DWORD src1_sel:WORD_1
	v_fma_f16 v81, v73, v85, -v81
	v_fma_f16 v42, v42, v71, v84
	v_mul_f16_sdwa v71, v86, v72 dst_sel:DWORD dst_unused:UNUSED_PAD src0_sel:DWORD src1_sel:WORD_1
	v_mul_f16_sdwa v82, v82, v70 dst_sel:DWORD dst_unused:UNUSED_PAD src0_sel:DWORD src1_sel:WORD_1
	v_fma_f16 v54, v54, s10, v63
	v_fma_f16 v63, v88, s11, v90
	v_fma_f16 v68, v72, v86, -v68
	v_fma_f16 v44, v44, v72, v71
	v_add_f16_e32 v72, v1, v81
	v_fma_f16 v45, v45, v70, v82
	v_mul_f16_sdwa v70, v85, v73 dst_sel:DWORD dst_unused:UNUSED_PAD src0_sel:DWORD src1_sel:WORD_1
	v_fma_f16 v53, v83, s12, v53
	v_fma_f16 v63, v83, s5, v63
	ds_read_u16 v69, v21 offset:2530
	ds_read_u16 v83, v21 offset:3300
	v_sub_f16_e32 v71, v42, v44
	v_fma_f16 v72, v72, -0.5, v24
	v_fma_f16 v43, v43, v73, v70
	v_fma_f16 v84, v71, s11, v72
	v_sub_f16_e32 v70, v45, v43
	v_fma_f16 v73, v70, s5, v84
	v_sub_f16_e32 v82, v42, v45
	v_sub_f16_e32 v84, v44, v43
	v_fma_f16 v53, v89, s10, v53
	v_fma_f16 v63, v89, s10, v63
	v_sub_f16_e32 v6, v0, v1
	v_add_f16_e32 v82, v82, v84
	v_sub_f16_e32 v84, v1, v81
	v_sub_f16_e32 v88, v1, v0
	;; [unrolled: 1-line block ×3, first 2 shown]
	v_add_f16_e32 v1, v1, v24
	v_sub_f16_e32 v86, v0, v68
	v_add_f16_e32 v88, v88, v89
	v_add_f16_e32 v89, v0, v68
	;; [unrolled: 1-line block ×4, first 2 shown]
	v_fma_f16 v89, v89, -0.5, v24
	v_add_f16_e32 v24, v81, v0
	v_add_f16_e32 v0, v41, v45
	v_sub_f16_e32 v91, v45, v42
	v_sub_f16_e32 v92, v43, v44
	v_add_f16_e32 v0, v42, v0
	v_add_f16_e32 v85, v45, v43
	;; [unrolled: 1-line block ×5, first 2 shown]
	v_sub_f16_e32 v87, v68, v81
	v_fma_f16 v85, v85, -0.5, v41
	v_fma_f16 v92, v92, -0.5, v41
	v_add_f16_e32 v41, v0, v43
	v_fma_f16 v0, v71, s4, v72
	v_add_f16_e32 v6, v6, v87
	v_fma_f16 v0, v70, s12, v0
	v_fma_f16 v68, v6, s10, v0
	;; [unrolled: 1-line block ×12, first 2 shown]
	v_lshlrev_b32_e32 v6, 2, v17
	v_fma_f16 v72, v86, s12, v0
	v_lshl_add_u64 v[0:1], v[6:7], 2, s[8:9]
	v_fma_f16 v87, v86, s4, v85
	global_load_dwordx4 v[42:45], v[0:1], off offset:1512
	v_fma_f16 v87, v84, s12, v87
	v_fma_f16 v87, v82, s10, v87
	s_waitcnt vmcnt(1)
	v_mul_f16_sdwa v0, v40, v74 dst_sel:DWORD dst_unused:UNUSED_PAD src0_sel:DWORD src1_sel:WORD_1
	v_mul_f16_sdwa v6, v37, v75 dst_sel:DWORD dst_unused:UNUSED_PAD src0_sel:DWORD src1_sel:WORD_1
	;; [unrolled: 1-line block ×4, first 2 shown]
	v_fma_f16 v93, v84, s4, v92
	v_fma_f16 v17, v91, s10, v72
	ds_read_u16 v1, v21 offset:880
	s_waitcnt lgkmcnt(3)
	v_fma_f16 v0, v74, v67, -v0
	ds_read_u16 v72, v21 offset:1650
	v_fma_f16 v6, v75, v18, -v6
	s_waitcnt lgkmcnt(2)
	v_fma_f16 v81, v77, v83, -v81
	ds_read_u16 v84, v21 offset:2420
	v_fma_f16 v82, v76, v69, -v82
	v_mul_f16_sdwa v67, v67, v74 dst_sel:DWORD dst_unused:UNUSED_PAD src0_sel:DWORD src1_sel:WORD_1
	v_sub_f16_e32 v7, v0, v6
	v_sub_f16_e32 v85, v81, v82
	v_fma_f16 v40, v40, v74, v67
	v_mul_f16_sdwa v67, v83, v77 dst_sel:DWORD dst_unused:UNUSED_PAD src0_sel:DWORD src1_sel:WORD_1
	v_mul_f16_sdwa v18, v18, v75 dst_sel:DWORD dst_unused:UNUSED_PAD src0_sel:DWORD src1_sel:WORD_1
	v_fma_f16 v90, v88, s10, v90
	v_fma_f16 v93, v86, s5, v93
	v_add_f16_e32 v7, v7, v85
	v_add_f16_e32 v85, v6, v82
	v_fma_f16 v39, v39, v77, v67
	v_fma_f16 v18, v37, v75, v18
	v_mul_f16_sdwa v37, v69, v76 dst_sel:DWORD dst_unused:UNUSED_PAD src0_sel:DWORD src1_sel:WORD_1
	v_sub_f16_e32 v86, v6, v0
	v_sub_f16_e32 v88, v82, v81
	v_fma_f16 v85, v85, -0.5, v23
	v_sub_f16_e32 v67, v40, v39
	v_fma_f16 v37, v38, v76, v37
	v_add_f16_e32 v86, v86, v88
	v_add_f16_e32 v88, v0, v81
	v_fma_f16 v74, v67, s4, v85
	v_sub_f16_e32 v38, v18, v37
	v_fma_f16 v88, v88, -0.5, v23
	v_fma_f16 v69, v38, s5, v74
	v_sub_f16_e32 v74, v40, v18
	v_sub_f16_e32 v75, v39, v37
	v_fma_f16 v89, v38, s11, v88
	v_fma_f16 v88, v38, s4, v88
	v_add_f16_e32 v74, v74, v75
	v_add_f16_e32 v75, v18, v37
	v_fma_f16 v89, v67, s5, v89
	v_fma_f16 v88, v67, s12, v88
	;; [unrolled: 1-line block ×3, first 2 shown]
	v_fma_f16 v75, v75, -0.5, v35
	v_sub_f16_e32 v76, v0, v81
	v_fma_f16 v38, v38, s12, v67
	v_fma_f16 v69, v7, s10, v69
	v_sub_f16_e32 v83, v6, v82
	v_fma_f16 v38, v7, s10, v38
	v_fma_f16 v7, v76, s4, v75
	;; [unrolled: 1-line block ×3, first 2 shown]
	v_add_f16_e32 v0, v0, v23
	v_fma_f16 v67, v74, s10, v7
	v_add_f16_e32 v0, v6, v0
	global_load_dwordx4 v[4:7], v[4:5], off offset:1512
	v_add_f16_e32 v0, v82, v0
	v_add_f16_e32 v23, v81, v0
	;; [unrolled: 1-line block ×3, first 2 shown]
	v_fma_f16 v77, v76, s11, v75
	v_add_f16_e32 v0, v0, v18
	v_fma_f16 v93, v91, s10, v93
	v_fma_f16 v77, v83, s12, v77
	v_sub_f16_e32 v91, v18, v40
	v_sub_f16_e32 v92, v37, v39
	v_add_f16_e32 v0, v0, v37
	v_fma_f16 v77, v74, s10, v77
	v_add_f16_e32 v91, v91, v92
	v_add_f16_e32 v92, v40, v39
	;; [unrolled: 1-line block ×3, first 2 shown]
	ds_read_u16 v39, v21 offset:1540
	v_fma_f16 v92, v92, -0.5, v35
	ds_read_u16 v35, v21 offset:770
	v_fma_f16 v89, v86, s10, v89
	v_fma_f16 v94, v83, s4, v92
	s_waitcnt vmcnt(1)
	v_mul_f16_sdwa v0, v36, v42 dst_sel:DWORD dst_unused:UNUSED_PAD src0_sel:DWORD src1_sel:WORD_1
	v_mul_f16_sdwa v37, v33, v43 dst_sel:DWORD dst_unused:UNUSED_PAD src0_sel:DWORD src1_sel:WORD_1
	;; [unrolled: 1-line block ×4, first 2 shown]
	s_waitcnt lgkmcnt(4)
	v_fma_f16 v0, v42, v1, -v0
	s_waitcnt lgkmcnt(3)
	v_fma_f16 v37, v43, v72, -v37
	v_fma_f16 v74, v45, v79, -v74
	s_waitcnt lgkmcnt(2)
	v_fma_f16 v75, v44, v84, -v75
	v_mul_f16_sdwa v1, v1, v42 dst_sel:DWORD dst_unused:UNUSED_PAD src0_sel:DWORD src1_sel:WORD_1
	v_fma_f16 v86, v86, s10, v88
	v_fma_f16 v88, v83, s11, v92
	;; [unrolled: 1-line block ×3, first 2 shown]
	v_mul_f16_sdwa v36, v79, v45 dst_sel:DWORD dst_unused:UNUSED_PAD src0_sel:DWORD src1_sel:WORD_1
	v_sub_f16_e32 v82, v37, v0
	v_sub_f16_e32 v83, v75, v74
	;; [unrolled: 1-line block ×3, first 2 shown]
	v_fma_f16 v32, v32, v45, v36
	v_mul_f16_sdwa v45, v72, v43 dst_sel:DWORD dst_unused:UNUSED_PAD src0_sel:DWORD src1_sel:WORD_1
	v_sub_f16_e32 v72, v0, v74
	v_add_f16_e32 v82, v82, v83
	v_add_f16_e32 v83, v0, v74
	;; [unrolled: 1-line block ×3, first 2 shown]
	v_fma_f16 v94, v76, s12, v94
	v_fma_f16 v88, v76, s5, v88
	v_sub_f16_e32 v76, v74, v75
	v_add_f16_e32 v0, v37, v0
	v_add_f16_e32 v40, v40, v76
	;; [unrolled: 1-line block ×3, first 2 shown]
	v_fma_f16 v33, v33, v43, v45
	v_mul_f16_sdwa v43, v84, v44 dst_sel:DWORD dst_unused:UNUSED_PAD src0_sel:DWORD src1_sel:WORD_1
	v_add_f16_e32 v0, v75, v0
	v_fma_f16 v76, v76, -0.5, v22
	v_fma_f16 v34, v34, v44, v43
	v_fma_f16 v83, v83, -0.5, v22
	v_add_f16_e32 v22, v74, v0
	v_add_f16_e32 v0, v28, v1
	v_fma_f16 v94, v91, s10, v94
	v_fma_f16 v88, v91, s10, v88
	v_sub_f16_e32 v44, v1, v33
	v_sub_f16_e32 v45, v32, v34
	v_sub_f16_e32 v85, v33, v1
	v_sub_f16_e32 v91, v34, v32
	v_add_f16_e32 v0, v0, v33
	v_sub_f16_e32 v36, v1, v32
	v_add_f16_e32 v44, v44, v45
	v_add_f16_e32 v45, v33, v34
	;; [unrolled: 1-line block ×4, first 2 shown]
	ds_read_u16 v1, v21
	v_add_f16_e32 v0, v0, v34
	v_sub_f16_e32 v43, v33, v34
	v_fma_f16 v45, v45, -0.5, v28
	v_fma_f16 v91, v91, -0.5, v28
	v_add_f16_e32 v28, v32, v0
	v_fma_f16 v0, v36, s11, v76
	v_fma_f16 v0, v43, s12, v0
	v_sub_f16_e32 v81, v37, v75
	v_fma_f16 v32, v40, s10, v0
	v_fma_f16 v0, v72, s4, v45
	v_fma_f16 v84, v43, s11, v83
	v_fma_f16 v83, v43, s4, v83
	v_fma_f16 v0, v81, s5, v0
	v_fma_f16 v42, v36, s4, v76
	v_fma_f16 v84, v36, s5, v84
	v_fma_f16 v83, v36, s12, v83
	v_fma_f16 v33, v44, s10, v0
	s_waitcnt vmcnt(0)
	v_mul_f16_sdwa v0, v30, v4 dst_sel:DWORD dst_unused:UNUSED_PAD src0_sel:DWORD src1_sel:WORD_1
	v_mul_f16_sdwa v21, v27, v5 dst_sel:DWORD dst_unused:UNUSED_PAD src0_sel:DWORD src1_sel:WORD_1
	;; [unrolled: 1-line block ×4, first 2 shown]
	v_fma_f16 v84, v82, s10, v84
	v_fma_f16 v92, v81, s4, v91
	;; [unrolled: 1-line block ×4, first 2 shown]
	s_waitcnt lgkmcnt(1)
	v_fma_f16 v0, v4, v35, -v0
	v_fma_f16 v21, v5, v39, -v21
	;; [unrolled: 1-line block ×4, first 2 shown]
	v_fma_f16 v79, v72, s11, v45
	v_fma_f16 v92, v72, s12, v92
	;; [unrolled: 1-line block ×3, first 2 shown]
	v_mul_f16_sdwa v35, v35, v4 dst_sel:DWORD dst_unused:UNUSED_PAD src0_sel:DWORD src1_sel:WORD_1
	v_sub_f16_e32 v45, v21, v0
	v_sub_f16_e32 v72, v37, v36
	v_fma_f16 v42, v43, s5, v42
	v_sub_f16_e32 v34, v0, v21
	v_fma_f16 v4, v30, v4, v35
	v_mul_f16_sdwa v35, v39, v5 dst_sel:DWORD dst_unused:UNUSED_PAD src0_sel:DWORD src1_sel:WORD_1
	v_sub_f16_e32 v39, v0, v36
	v_add_f16_e32 v45, v45, v72
	v_add_f16_e32 v72, v0, v36
	s_waitcnt lgkmcnt(0)
	v_add_f16_e32 v0, v0, v1
	v_fma_f16 v42, v40, s10, v42
	v_sub_f16_e32 v40, v36, v37
	v_mul_f16_sdwa v30, v80, v7 dst_sel:DWORD dst_unused:UNUSED_PAD src0_sel:DWORD src1_sel:WORD_1
	v_add_f16_e32 v0, v21, v0
	v_fma_f16 v79, v81, s12, v79
	v_add_f16_e32 v34, v34, v40
	v_add_f16_e32 v40, v21, v37
	v_fma_f16 v7, v31, v7, v30
	v_fma_f16 v5, v27, v5, v35
	v_mul_f16_sdwa v27, v78, v6 dst_sel:DWORD dst_unused:UNUSED_PAD src0_sel:DWORD src1_sel:WORD_1
	v_add_f16_e32 v0, v37, v0
	v_fma_f16 v79, v44, s10, v79
	v_fma_f16 v40, v40, -0.5, v1
	v_sub_f16_e32 v30, v4, v7
	v_fma_f16 v6, v29, v6, v27
	v_sub_f16_e32 v44, v21, v37
	v_add_f16_e32 v21, v36, v0
	v_add_f16_e32 v0, v26, v4
	v_fma_f16 v31, v30, s4, v40
	v_sub_f16_e32 v27, v5, v6
	v_add_f16_e32 v0, v0, v5
	v_fma_f16 v29, v27, s5, v31
	v_sub_f16_e32 v31, v4, v5
	v_sub_f16_e32 v35, v7, v6
	v_add_f16_e32 v0, v0, v6
	v_add_f16_e32 v31, v31, v35
	;; [unrolled: 1-line block ×3, first 2 shown]
	v_sub_f16_e32 v76, v6, v7
	v_add_f16_e32 v6, v7, v0
	v_mul_hi_u32 v0, v16, s0
	v_sub_f16_e32 v75, v5, v4
	v_lshrrev_b32_e32 v0, 7, v0
	v_add_f16_e32 v75, v75, v76
	v_add_f16_e32 v76, v4, v7
	v_mul_u32_u24_e32 v0, 0x181, v0
	v_fma_f16 v35, v35, -0.5, v26
	v_fma_f16 v76, v76, -0.5, v26
	v_sub_u32_e32 v26, v16, v0
	v_mad_u64_u32 v[4:5], s[2:3], s16, v26, 0
	v_mov_b32_e32 v0, v5
	v_fma_f16 v72, v72, -0.5, v1
	v_mad_u64_u32 v[0:1], s[2:3], s17, v26, v[0:1]
	v_mov_b32_e32 v5, v0
	v_lshl_add_u64 v[0:1], v[8:9], 2, s[6:7]
	v_lshl_add_u64 v[0:1], v[12:13], 2, v[0:1]
	v_fma_f16 v74, v27, s11, v72
	v_fma_f16 v72, v27, s4, v72
	v_lshl_add_u64 v[4:5], v[4:5], 2, v[0:1]
	v_pack_b32_f16 v6, v6, v21
	v_add_u32_e32 v7, 0x181, v26
	v_fma_f16 v74, v30, s5, v74
	v_fma_f16 v72, v30, s12, v72
	;; [unrolled: 1-line block ×3, first 2 shown]
	global_store_dword v[4:5], v6, off
	v_mad_u64_u32 v[4:5], s[2:3], s16, v7, 0
	v_fma_f16 v27, v27, s12, v30
	v_fma_f16 v30, v39, s4, v35
	v_mov_b32_e32 v6, v5
	v_fma_f16 v30, v44, s5, v30
	v_mad_u64_u32 v[6:7], s[2:3], s17, v7, v[6:7]
	v_fma_f16 v27, v34, s10, v27
	v_fma_f16 v30, v31, s10, v30
	v_mov_b32_e32 v5, v6
	v_lshl_add_u64 v[4:5], v[4:5], 2, v[0:1]
	v_pack_b32_f16 v6, v30, v27
	v_add_u32_e32 v7, 0x302, v26
	global_store_dword v[4:5], v6, off
	v_mad_u64_u32 v[4:5], s[2:3], s16, v7, 0
	v_fma_f16 v74, v45, s10, v74
	v_fma_f16 v45, v45, s10, v72
	;; [unrolled: 1-line block ×3, first 2 shown]
	v_mov_b32_e32 v6, v5
	v_fma_f16 v72, v39, s5, v72
	v_mad_u64_u32 v[6:7], s[2:3], s17, v7, v[6:7]
	v_fma_f16 v72, v75, s10, v72
	v_mov_b32_e32 v5, v6
	v_lshl_add_u64 v[4:5], v[4:5], 2, v[0:1]
	v_pack_b32_f16 v6, v72, v45
	v_add_u32_e32 v7, 0x483, v26
	global_store_dword v[4:5], v6, off
	v_mad_u64_u32 v[4:5], s[2:3], s16, v7, 0
	v_fma_f16 v78, v44, s4, v76
	v_mov_b32_e32 v6, v5
	v_fma_f16 v78, v39, s12, v78
	v_mad_u64_u32 v[6:7], s[2:3], s17, v7, v[6:7]
	v_fma_f16 v78, v75, s10, v78
	v_mov_b32_e32 v5, v6
	v_lshl_add_u64 v[4:5], v[4:5], 2, v[0:1]
	v_pack_b32_f16 v6, v78, v74
	v_add_u32_e32 v7, 0x604, v26
	global_store_dword v[4:5], v6, off
	v_mad_u64_u32 v[4:5], s[2:3], s16, v7, 0
	v_fma_f16 v43, v39, s11, v35
	v_mov_b32_e32 v6, v5
	v_fma_f16 v43, v44, s12, v43
	v_mad_u64_u32 v[6:7], s[2:3], s17, v7, v[6:7]
	v_fma_f16 v29, v34, s10, v29
	v_fma_f16 v43, v31, s10, v43
	v_mov_b32_e32 v5, v6
	v_lshl_add_u64 v[4:5], v[4:5], 2, v[0:1]
	v_pack_b32_f16 v6, v43, v29
	global_store_dword v[4:5], v6, off
	v_add_u32_e32 v4, 55, v16
	v_mul_hi_u32 v5, v4, s0
	v_lshrrev_b32_e32 v5, 7, v5
	v_mul_u32_u24_e32 v6, 0x181, v5
	v_sub_u32_e32 v4, v4, v6
	v_mad_u32_u24 v8, v5, s1, v4
	v_mad_u64_u32 v[4:5], s[2:3], s16, v8, 0
	v_mov_b32_e32 v6, v5
	v_mad_u64_u32 v[6:7], s[2:3], s17, v8, v[6:7]
	v_mov_b32_e32 v5, v6
	v_lshl_add_u64 v[4:5], v[4:5], 2, v[0:1]
	v_pack_b32_f16 v6, v28, v22
	v_add_u32_e32 v7, 0x181, v8
	global_store_dword v[4:5], v6, off
	v_mad_u64_u32 v[4:5], s[2:3], s16, v7, 0
	v_mov_b32_e32 v6, v5
	v_mad_u64_u32 v[6:7], s[2:3], s17, v7, v[6:7]
	v_mov_b32_e32 v5, v6
	v_lshl_add_u64 v[4:5], v[4:5], 2, v[0:1]
	v_pack_b32_f16 v6, v33, v32
	v_add_u32_e32 v7, 0x302, v8
	global_store_dword v[4:5], v6, off
	v_mad_u64_u32 v[4:5], s[2:3], s16, v7, 0
	v_mov_b32_e32 v6, v5
	v_mad_u64_u32 v[6:7], s[2:3], s17, v7, v[6:7]
	v_fma_f16 v83, v85, s10, v83
	v_mov_b32_e32 v5, v6
	v_lshl_add_u64 v[4:5], v[4:5], 2, v[0:1]
	v_pack_b32_f16 v6, v83, v82
	v_add_u32_e32 v7, 0x483, v8
	global_store_dword v[4:5], v6, off
	v_mad_u64_u32 v[4:5], s[2:3], s16, v7, 0
	v_mov_b32_e32 v6, v5
	v_mad_u64_u32 v[6:7], s[2:3], s17, v7, v[6:7]
	v_fma_f16 v92, v85, s10, v92
	v_mov_b32_e32 v5, v6
	v_lshl_add_u64 v[4:5], v[4:5], 2, v[0:1]
	v_pack_b32_f16 v6, v92, v84
	v_add_u32_e32 v7, 0x604, v8
	global_store_dword v[4:5], v6, off
	v_mad_u64_u32 v[4:5], s[2:3], s16, v7, 0
	v_mov_b32_e32 v6, v5
	v_mad_u64_u32 v[6:7], s[2:3], s17, v7, v[6:7]
	v_mov_b32_e32 v5, v6
	v_lshl_add_u64 v[4:5], v[4:5], 2, v[0:1]
	v_pack_b32_f16 v6, v79, v42
	global_store_dword v[4:5], v6, off
	v_add_u32_e32 v4, 0x6e, v16
	v_mul_hi_u32 v5, v4, s0
	v_lshrrev_b32_e32 v5, 7, v5
	v_mul_u32_u24_e32 v6, 0x181, v5
	v_sub_u32_e32 v4, v4, v6
	v_mad_u32_u24 v8, v5, s1, v4
	v_mad_u64_u32 v[4:5], s[2:3], s16, v8, 0
	v_mov_b32_e32 v6, v5
	v_mad_u64_u32 v[6:7], s[2:3], s17, v8, v[6:7]
	v_mov_b32_e32 v5, v6
	v_lshl_add_u64 v[4:5], v[4:5], 2, v[0:1]
	v_pack_b32_f16 v6, v18, v23
	v_add_u32_e32 v7, 0x181, v8
	global_store_dword v[4:5], v6, off
	v_mad_u64_u32 v[4:5], s[2:3], s16, v7, 0
	v_mov_b32_e32 v6, v5
	v_mad_u64_u32 v[6:7], s[2:3], s17, v7, v[6:7]
	v_mov_b32_e32 v5, v6
	v_lshl_add_u64 v[4:5], v[4:5], 2, v[0:1]
	v_pack_b32_f16 v6, v67, v38
	v_add_u32_e32 v7, 0x302, v8
	global_store_dword v[4:5], v6, off
	v_mad_u64_u32 v[4:5], s[2:3], s16, v7, 0
	v_mov_b32_e32 v6, v5
	v_mad_u64_u32 v[6:7], s[2:3], s17, v7, v[6:7]
	v_mov_b32_e32 v5, v6
	v_lshl_add_u64 v[4:5], v[4:5], 2, v[0:1]
	v_pack_b32_f16 v6, v88, v86
	v_add_u32_e32 v7, 0x483, v8
	global_store_dword v[4:5], v6, off
	v_mad_u64_u32 v[4:5], s[2:3], s16, v7, 0
	v_mov_b32_e32 v6, v5
	v_mad_u64_u32 v[6:7], s[2:3], s17, v7, v[6:7]
	v_mov_b32_e32 v5, v6
	v_lshl_add_u64 v[4:5], v[4:5], 2, v[0:1]
	v_pack_b32_f16 v6, v94, v89
	v_add_u32_e32 v7, 0x604, v8
	global_store_dword v[4:5], v6, off
	v_mad_u64_u32 v[4:5], s[2:3], s16, v7, 0
	v_mov_b32_e32 v6, v5
	v_mad_u64_u32 v[6:7], s[2:3], s17, v7, v[6:7]
	v_mov_b32_e32 v5, v6
	v_lshl_add_u64 v[4:5], v[4:5], 2, v[0:1]
	v_pack_b32_f16 v6, v77, v69
	global_store_dword v[4:5], v6, off
	v_add_u32_e32 v4, 0xa5, v16
	v_mul_hi_u32 v5, v4, s0
	v_lshrrev_b32_e32 v5, 7, v5
	v_mul_u32_u24_e32 v6, 0x181, v5
	v_sub_u32_e32 v4, v4, v6
	v_mad_u32_u24 v8, v5, s1, v4
	v_mad_u64_u32 v[4:5], s[2:3], s16, v8, 0
	v_mov_b32_e32 v6, v5
	v_mad_u64_u32 v[6:7], s[2:3], s17, v8, v[6:7]
	v_mov_b32_e32 v5, v6
	v_lshl_add_u64 v[4:5], v[4:5], 2, v[0:1]
	v_pack_b32_f16 v6, v41, v24
	v_add_u32_e32 v7, 0x181, v8
	global_store_dword v[4:5], v6, off
	v_mad_u64_u32 v[4:5], s[2:3], s16, v7, 0
	v_mov_b32_e32 v6, v5
	v_mad_u64_u32 v[6:7], s[2:3], s17, v7, v[6:7]
	v_mov_b32_e32 v5, v6
	v_lshl_add_u64 v[4:5], v[4:5], 2, v[0:1]
	v_pack_b32_f16 v6, v93, v90
	v_add_u32_e32 v7, 0x302, v8
	global_store_dword v[4:5], v6, off
	v_mad_u64_u32 v[4:5], s[2:3], s16, v7, 0
	v_mov_b32_e32 v6, v5
	v_mad_u64_u32 v[6:7], s[2:3], s17, v7, v[6:7]
	v_mov_b32_e32 v5, v6
	v_lshl_add_u64 v[4:5], v[4:5], 2, v[0:1]
	v_pack_b32_f16 v6, v71, v68
	v_add_u32_e32 v7, 0x483, v8
	global_store_dword v[4:5], v6, off
	v_mad_u64_u32 v[4:5], s[2:3], s16, v7, 0
	v_mov_b32_e32 v6, v5
	v_mad_u64_u32 v[6:7], s[2:3], s17, v7, v[6:7]
	;; [unrolled: 45-line block ×5, first 2 shown]
	v_mov_b32_e32 v5, v6
	v_lshl_add_u64 v[4:5], v[4:5], 2, v[0:1]
	v_pack_b32_f16 v6, v11, v10
	v_add_u32_e32 v7, 0x604, v8
	global_store_dword v[4:5], v6, off
	v_mad_u64_u32 v[4:5], s[0:1], s16, v7, 0
	v_mov_b32_e32 v6, v5
	v_mad_u64_u32 v[6:7], s[0:1], s17, v7, v[6:7]
	v_mov_b32_e32 v5, v6
	v_lshl_add_u64 v[0:1], v[4:5], 2, v[0:1]
	v_pack_b32_f16 v2, v3, v2
	global_store_dword v[0:1], v2, off
.LBB0_23:
	s_endpgm
	.section	.rodata,"a",@progbits
	.p2align	6, 0x0
	.amdhsa_kernel fft_rtc_back_len1925_factors_7_11_5_5_wgs_55_tpt_55_halfLds_half_op_CI_CI_sbrr_dirReg
		.amdhsa_group_segment_fixed_size 0
		.amdhsa_private_segment_fixed_size 0
		.amdhsa_kernarg_size 104
		.amdhsa_user_sgpr_count 2
		.amdhsa_user_sgpr_dispatch_ptr 0
		.amdhsa_user_sgpr_queue_ptr 0
		.amdhsa_user_sgpr_kernarg_segment_ptr 1
		.amdhsa_user_sgpr_dispatch_id 0
		.amdhsa_user_sgpr_kernarg_preload_length 0
		.amdhsa_user_sgpr_kernarg_preload_offset 0
		.amdhsa_user_sgpr_private_segment_size 0
		.amdhsa_uses_dynamic_stack 0
		.amdhsa_enable_private_segment 0
		.amdhsa_system_sgpr_workgroup_id_x 1
		.amdhsa_system_sgpr_workgroup_id_y 0
		.amdhsa_system_sgpr_workgroup_id_z 0
		.amdhsa_system_sgpr_workgroup_info 0
		.amdhsa_system_vgpr_workitem_id 0
		.amdhsa_next_free_vgpr 165
		.amdhsa_next_free_sgpr 32
		.amdhsa_accum_offset 168
		.amdhsa_reserve_vcc 1
		.amdhsa_float_round_mode_32 0
		.amdhsa_float_round_mode_16_64 0
		.amdhsa_float_denorm_mode_32 3
		.amdhsa_float_denorm_mode_16_64 3
		.amdhsa_dx10_clamp 1
		.amdhsa_ieee_mode 1
		.amdhsa_fp16_overflow 0
		.amdhsa_tg_split 0
		.amdhsa_exception_fp_ieee_invalid_op 0
		.amdhsa_exception_fp_denorm_src 0
		.amdhsa_exception_fp_ieee_div_zero 0
		.amdhsa_exception_fp_ieee_overflow 0
		.amdhsa_exception_fp_ieee_underflow 0
		.amdhsa_exception_fp_ieee_inexact 0
		.amdhsa_exception_int_div_zero 0
	.end_amdhsa_kernel
	.text
.Lfunc_end0:
	.size	fft_rtc_back_len1925_factors_7_11_5_5_wgs_55_tpt_55_halfLds_half_op_CI_CI_sbrr_dirReg, .Lfunc_end0-fft_rtc_back_len1925_factors_7_11_5_5_wgs_55_tpt_55_halfLds_half_op_CI_CI_sbrr_dirReg
                                        ; -- End function
	.section	.AMDGPU.csdata,"",@progbits
; Kernel info:
; codeLenInByte = 28068
; NumSgprs: 38
; NumVgprs: 165
; NumAgprs: 0
; TotalNumVgprs: 165
; ScratchSize: 0
; MemoryBound: 0
; FloatMode: 240
; IeeeMode: 1
; LDSByteSize: 0 bytes/workgroup (compile time only)
; SGPRBlocks: 4
; VGPRBlocks: 20
; NumSGPRsForWavesPerEU: 38
; NumVGPRsForWavesPerEU: 165
; AccumOffset: 168
; Occupancy: 3
; WaveLimiterHint : 1
; COMPUTE_PGM_RSRC2:SCRATCH_EN: 0
; COMPUTE_PGM_RSRC2:USER_SGPR: 2
; COMPUTE_PGM_RSRC2:TRAP_HANDLER: 0
; COMPUTE_PGM_RSRC2:TGID_X_EN: 1
; COMPUTE_PGM_RSRC2:TGID_Y_EN: 0
; COMPUTE_PGM_RSRC2:TGID_Z_EN: 0
; COMPUTE_PGM_RSRC2:TIDIG_COMP_CNT: 0
; COMPUTE_PGM_RSRC3_GFX90A:ACCUM_OFFSET: 41
; COMPUTE_PGM_RSRC3_GFX90A:TG_SPLIT: 0
	.text
	.p2alignl 6, 3212836864
	.fill 256, 4, 3212836864
	.type	__hip_cuid_e194ef08cf61058d,@object ; @__hip_cuid_e194ef08cf61058d
	.section	.bss,"aw",@nobits
	.globl	__hip_cuid_e194ef08cf61058d
__hip_cuid_e194ef08cf61058d:
	.byte	0                               ; 0x0
	.size	__hip_cuid_e194ef08cf61058d, 1

	.ident	"AMD clang version 19.0.0git (https://github.com/RadeonOpenCompute/llvm-project roc-6.4.0 25133 c7fe45cf4b819c5991fe208aaa96edf142730f1d)"
	.section	".note.GNU-stack","",@progbits
	.addrsig
	.addrsig_sym __hip_cuid_e194ef08cf61058d
	.amdgpu_metadata
---
amdhsa.kernels:
  - .agpr_count:     0
    .args:
      - .actual_access:  read_only
        .address_space:  global
        .offset:         0
        .size:           8
        .value_kind:     global_buffer
      - .offset:         8
        .size:           8
        .value_kind:     by_value
      - .actual_access:  read_only
        .address_space:  global
        .offset:         16
        .size:           8
        .value_kind:     global_buffer
      - .actual_access:  read_only
        .address_space:  global
        .offset:         24
        .size:           8
        .value_kind:     global_buffer
      - .actual_access:  read_only
        .address_space:  global
        .offset:         32
        .size:           8
        .value_kind:     global_buffer
      - .offset:         40
        .size:           8
        .value_kind:     by_value
      - .actual_access:  read_only
        .address_space:  global
        .offset:         48
        .size:           8
        .value_kind:     global_buffer
      - .actual_access:  read_only
        .address_space:  global
        .offset:         56
        .size:           8
        .value_kind:     global_buffer
      - .offset:         64
        .size:           4
        .value_kind:     by_value
      - .actual_access:  read_only
        .address_space:  global
        .offset:         72
        .size:           8
        .value_kind:     global_buffer
      - .actual_access:  read_only
        .address_space:  global
        .offset:         80
        .size:           8
        .value_kind:     global_buffer
      - .actual_access:  read_only
        .address_space:  global
        .offset:         88
        .size:           8
        .value_kind:     global_buffer
      - .actual_access:  write_only
        .address_space:  global
        .offset:         96
        .size:           8
        .value_kind:     global_buffer
    .group_segment_fixed_size: 0
    .kernarg_segment_align: 8
    .kernarg_segment_size: 104
    .language:       OpenCL C
    .language_version:
      - 2
      - 0
    .max_flat_workgroup_size: 55
    .name:           fft_rtc_back_len1925_factors_7_11_5_5_wgs_55_tpt_55_halfLds_half_op_CI_CI_sbrr_dirReg
    .private_segment_fixed_size: 0
    .sgpr_count:     38
    .sgpr_spill_count: 0
    .symbol:         fft_rtc_back_len1925_factors_7_11_5_5_wgs_55_tpt_55_halfLds_half_op_CI_CI_sbrr_dirReg.kd
    .uniform_work_group_size: 1
    .uses_dynamic_stack: false
    .vgpr_count:     165
    .vgpr_spill_count: 0
    .wavefront_size: 64
amdhsa.target:   amdgcn-amd-amdhsa--gfx950
amdhsa.version:
  - 1
  - 2
...

	.end_amdgpu_metadata
